;; amdgpu-corpus repo=ROCm/rocFFT kind=compiled arch=gfx906 opt=O3
	.text
	.amdgcn_target "amdgcn-amd-amdhsa--gfx906"
	.amdhsa_code_object_version 6
	.protected	fft_rtc_back_len1352_factors_2_13_13_4_wgs_52_tpt_52_halfLds_half_ip_CI_unitstride_sbrr_dirReg ; -- Begin function fft_rtc_back_len1352_factors_2_13_13_4_wgs_52_tpt_52_halfLds_half_ip_CI_unitstride_sbrr_dirReg
	.globl	fft_rtc_back_len1352_factors_2_13_13_4_wgs_52_tpt_52_halfLds_half_ip_CI_unitstride_sbrr_dirReg
	.p2align	8
	.type	fft_rtc_back_len1352_factors_2_13_13_4_wgs_52_tpt_52_halfLds_half_ip_CI_unitstride_sbrr_dirReg,@function
fft_rtc_back_len1352_factors_2_13_13_4_wgs_52_tpt_52_halfLds_half_ip_CI_unitstride_sbrr_dirReg: ; @fft_rtc_back_len1352_factors_2_13_13_4_wgs_52_tpt_52_halfLds_half_ip_CI_unitstride_sbrr_dirReg
; %bb.0:
	s_load_dwordx2 s[12:13], s[4:5], 0x50
	s_load_dwordx4 s[8:11], s[4:5], 0x0
	s_load_dwordx2 s[2:3], s[4:5], 0x18
	v_mul_u32_u24_e32 v1, 0x4ed, v0
	v_add_u32_sdwa v5, s6, v1 dst_sel:DWORD dst_unused:UNUSED_PAD src0_sel:DWORD src1_sel:WORD_1
	v_mov_b32_e32 v3, 0
	s_waitcnt lgkmcnt(0)
	v_cmp_lt_u64_e64 s[0:1], s[10:11], 2
	v_mov_b32_e32 v1, 0
	v_mov_b32_e32 v6, v3
	s_and_b64 vcc, exec, s[0:1]
	v_mov_b32_e32 v2, 0
	s_cbranch_vccnz .LBB0_8
; %bb.1:
	s_load_dwordx2 s[0:1], s[4:5], 0x10
	s_add_u32 s6, s2, 8
	s_addc_u32 s7, s3, 0
	v_mov_b32_e32 v1, 0
	v_mov_b32_e32 v2, 0
	s_waitcnt lgkmcnt(0)
	s_add_u32 s14, s0, 8
	s_addc_u32 s15, s1, 0
	s_mov_b64 s[16:17], 1
.LBB0_2:                                ; =>This Inner Loop Header: Depth=1
	s_load_dwordx2 s[18:19], s[14:15], 0x0
                                        ; implicit-def: $vgpr7_vgpr8
	s_waitcnt lgkmcnt(0)
	v_or_b32_e32 v4, s19, v6
	v_cmp_ne_u64_e32 vcc, 0, v[3:4]
	s_and_saveexec_b64 s[0:1], vcc
	s_xor_b64 s[20:21], exec, s[0:1]
	s_cbranch_execz .LBB0_4
; %bb.3:                                ;   in Loop: Header=BB0_2 Depth=1
	v_cvt_f32_u32_e32 v4, s18
	v_cvt_f32_u32_e32 v7, s19
	s_sub_u32 s0, 0, s18
	s_subb_u32 s1, 0, s19
	v_mac_f32_e32 v4, 0x4f800000, v7
	v_rcp_f32_e32 v4, v4
	v_mul_f32_e32 v4, 0x5f7ffffc, v4
	v_mul_f32_e32 v7, 0x2f800000, v4
	v_trunc_f32_e32 v7, v7
	v_mac_f32_e32 v4, 0xcf800000, v7
	v_cvt_u32_f32_e32 v7, v7
	v_cvt_u32_f32_e32 v4, v4
	v_mul_lo_u32 v8, s0, v7
	v_mul_hi_u32 v9, s0, v4
	v_mul_lo_u32 v11, s1, v4
	v_mul_lo_u32 v10, s0, v4
	v_add_u32_e32 v8, v9, v8
	v_add_u32_e32 v8, v8, v11
	v_mul_hi_u32 v9, v4, v10
	v_mul_lo_u32 v11, v4, v8
	v_mul_hi_u32 v13, v4, v8
	v_mul_hi_u32 v12, v7, v10
	v_mul_lo_u32 v10, v7, v10
	v_mul_hi_u32 v14, v7, v8
	v_add_co_u32_e32 v9, vcc, v9, v11
	v_addc_co_u32_e32 v11, vcc, 0, v13, vcc
	v_mul_lo_u32 v8, v7, v8
	v_add_co_u32_e32 v9, vcc, v9, v10
	v_addc_co_u32_e32 v9, vcc, v11, v12, vcc
	v_addc_co_u32_e32 v10, vcc, 0, v14, vcc
	v_add_co_u32_e32 v8, vcc, v9, v8
	v_addc_co_u32_e32 v9, vcc, 0, v10, vcc
	v_add_co_u32_e32 v4, vcc, v4, v8
	v_addc_co_u32_e32 v7, vcc, v7, v9, vcc
	v_mul_lo_u32 v8, s0, v7
	v_mul_hi_u32 v9, s0, v4
	v_mul_lo_u32 v10, s1, v4
	v_mul_lo_u32 v11, s0, v4
	v_add_u32_e32 v8, v9, v8
	v_add_u32_e32 v8, v8, v10
	v_mul_lo_u32 v12, v4, v8
	v_mul_hi_u32 v13, v4, v11
	v_mul_hi_u32 v14, v4, v8
	;; [unrolled: 1-line block ×3, first 2 shown]
	v_mul_lo_u32 v11, v7, v11
	v_mul_hi_u32 v9, v7, v8
	v_add_co_u32_e32 v12, vcc, v13, v12
	v_addc_co_u32_e32 v13, vcc, 0, v14, vcc
	v_mul_lo_u32 v8, v7, v8
	v_add_co_u32_e32 v11, vcc, v12, v11
	v_addc_co_u32_e32 v10, vcc, v13, v10, vcc
	v_addc_co_u32_e32 v9, vcc, 0, v9, vcc
	v_add_co_u32_e32 v8, vcc, v10, v8
	v_addc_co_u32_e32 v9, vcc, 0, v9, vcc
	v_add_co_u32_e32 v4, vcc, v4, v8
	v_addc_co_u32_e32 v9, vcc, v7, v9, vcc
	v_mad_u64_u32 v[7:8], s[0:1], v5, v9, 0
	v_mul_hi_u32 v10, v5, v4
	v_add_co_u32_e32 v11, vcc, v10, v7
	v_addc_co_u32_e32 v12, vcc, 0, v8, vcc
	v_mad_u64_u32 v[7:8], s[0:1], v6, v4, 0
	v_mad_u64_u32 v[9:10], s[0:1], v6, v9, 0
	v_add_co_u32_e32 v4, vcc, v11, v7
	v_addc_co_u32_e32 v4, vcc, v12, v8, vcc
	v_addc_co_u32_e32 v7, vcc, 0, v10, vcc
	v_add_co_u32_e32 v4, vcc, v4, v9
	v_addc_co_u32_e32 v9, vcc, 0, v7, vcc
	v_mul_lo_u32 v10, s19, v4
	v_mul_lo_u32 v11, s18, v9
	v_mad_u64_u32 v[7:8], s[0:1], s18, v4, 0
	v_add3_u32 v8, v8, v11, v10
	v_sub_u32_e32 v10, v6, v8
	v_mov_b32_e32 v11, s19
	v_sub_co_u32_e32 v7, vcc, v5, v7
	v_subb_co_u32_e64 v10, s[0:1], v10, v11, vcc
	v_subrev_co_u32_e64 v11, s[0:1], s18, v7
	v_subbrev_co_u32_e64 v10, s[0:1], 0, v10, s[0:1]
	v_cmp_le_u32_e64 s[0:1], s19, v10
	v_cndmask_b32_e64 v12, 0, -1, s[0:1]
	v_cmp_le_u32_e64 s[0:1], s18, v11
	v_cndmask_b32_e64 v11, 0, -1, s[0:1]
	v_cmp_eq_u32_e64 s[0:1], s19, v10
	v_cndmask_b32_e64 v10, v12, v11, s[0:1]
	v_add_co_u32_e64 v11, s[0:1], 2, v4
	v_addc_co_u32_e64 v12, s[0:1], 0, v9, s[0:1]
	v_add_co_u32_e64 v13, s[0:1], 1, v4
	v_addc_co_u32_e64 v14, s[0:1], 0, v9, s[0:1]
	v_subb_co_u32_e32 v8, vcc, v6, v8, vcc
	v_cmp_ne_u32_e64 s[0:1], 0, v10
	v_cmp_le_u32_e32 vcc, s19, v8
	v_cndmask_b32_e64 v10, v14, v12, s[0:1]
	v_cndmask_b32_e64 v12, 0, -1, vcc
	v_cmp_le_u32_e32 vcc, s18, v7
	v_cndmask_b32_e64 v7, 0, -1, vcc
	v_cmp_eq_u32_e32 vcc, s19, v8
	v_cndmask_b32_e32 v7, v12, v7, vcc
	v_cmp_ne_u32_e32 vcc, 0, v7
	v_cndmask_b32_e64 v7, v13, v11, s[0:1]
	v_cndmask_b32_e32 v8, v9, v10, vcc
	v_cndmask_b32_e32 v7, v4, v7, vcc
.LBB0_4:                                ;   in Loop: Header=BB0_2 Depth=1
	s_andn2_saveexec_b64 s[0:1], s[20:21]
	s_cbranch_execz .LBB0_6
; %bb.5:                                ;   in Loop: Header=BB0_2 Depth=1
	v_cvt_f32_u32_e32 v4, s18
	s_sub_i32 s20, 0, s18
	v_rcp_iflag_f32_e32 v4, v4
	v_mul_f32_e32 v4, 0x4f7ffffe, v4
	v_cvt_u32_f32_e32 v4, v4
	v_mul_lo_u32 v7, s20, v4
	v_mul_hi_u32 v7, v4, v7
	v_add_u32_e32 v4, v4, v7
	v_mul_hi_u32 v4, v5, v4
	v_mul_lo_u32 v7, v4, s18
	v_add_u32_e32 v8, 1, v4
	v_sub_u32_e32 v7, v5, v7
	v_subrev_u32_e32 v9, s18, v7
	v_cmp_le_u32_e32 vcc, s18, v7
	v_cndmask_b32_e32 v7, v7, v9, vcc
	v_cndmask_b32_e32 v4, v4, v8, vcc
	v_add_u32_e32 v8, 1, v4
	v_cmp_le_u32_e32 vcc, s18, v7
	v_cndmask_b32_e32 v7, v4, v8, vcc
	v_mov_b32_e32 v8, v3
.LBB0_6:                                ;   in Loop: Header=BB0_2 Depth=1
	s_or_b64 exec, exec, s[0:1]
	v_mul_lo_u32 v4, v8, s18
	v_mul_lo_u32 v11, v7, s19
	v_mad_u64_u32 v[9:10], s[0:1], v7, s18, 0
	s_load_dwordx2 s[0:1], s[6:7], 0x0
	s_add_u32 s16, s16, 1
	v_add3_u32 v4, v10, v11, v4
	v_sub_co_u32_e32 v5, vcc, v5, v9
	v_subb_co_u32_e32 v4, vcc, v6, v4, vcc
	s_waitcnt lgkmcnt(0)
	v_mul_lo_u32 v4, s0, v4
	v_mul_lo_u32 v6, s1, v5
	v_mad_u64_u32 v[1:2], s[0:1], s0, v5, v[1:2]
	s_addc_u32 s17, s17, 0
	s_add_u32 s6, s6, 8
	v_add3_u32 v2, v6, v2, v4
	v_mov_b32_e32 v4, s10
	v_mov_b32_e32 v5, s11
	s_addc_u32 s7, s7, 0
	v_cmp_ge_u64_e32 vcc, s[16:17], v[4:5]
	s_add_u32 s14, s14, 8
	s_addc_u32 s15, s15, 0
	s_cbranch_vccnz .LBB0_9
; %bb.7:                                ;   in Loop: Header=BB0_2 Depth=1
	v_mov_b32_e32 v5, v7
	v_mov_b32_e32 v6, v8
	s_branch .LBB0_2
.LBB0_8:
	v_mov_b32_e32 v8, v6
	v_mov_b32_e32 v7, v5
.LBB0_9:
	s_lshl_b64 s[0:1], s[10:11], 3
	s_add_u32 s0, s2, s0
	s_addc_u32 s1, s3, s1
	s_load_dwordx2 s[2:3], s[0:1], 0x0
	s_load_dwordx2 s[6:7], s[4:5], 0x20
	v_mov_b32_e32 v14, 0
	v_mov_b32_e32 v10, 0
	;; [unrolled: 1-line block ×3, first 2 shown]
	s_waitcnt lgkmcnt(0)
	v_mad_u64_u32 v[1:2], s[0:1], s2, v7, v[1:2]
	v_mul_lo_u32 v3, s2, v8
	v_mul_lo_u32 v4, s3, v7
	s_mov_b32 s0, 0x4ec4ec5
	v_mul_hi_u32 v5, v0, s0
	v_cmp_gt_u64_e32 vcc, s[6:7], v[7:8]
	v_add3_u32 v2, v4, v2, v3
	v_lshlrev_b64 v[18:19], 2, v[1:2]
	v_mul_u32_u24_e32 v3, 52, v5
	v_sub_u32_e32 v16, v0, v3
	v_mov_b32_e32 v0, 0
	v_mov_b32_e32 v3, 0
	;; [unrolled: 1-line block ×11, first 2 shown]
                                        ; implicit-def: $vgpr11
                                        ; implicit-def: $vgpr26
                                        ; implicit-def: $vgpr52
                                        ; implicit-def: $vgpr27
                                        ; implicit-def: $vgpr46
                                        ; implicit-def: $vgpr28
                                        ; implicit-def: $vgpr29
                                        ; implicit-def: $vgpr17
                                        ; implicit-def: $vgpr47
                                        ; implicit-def: $vgpr15
                                        ; implicit-def: $vgpr44
                                        ; implicit-def: $vgpr12
                                        ; implicit-def: $vgpr6
                                        ; implicit-def: $vgpr9
                                        ; implicit-def: $vgpr23
                                        ; implicit-def: $vgpr25
                                        ; implicit-def: $vgpr56
                                        ; implicit-def: $vgpr13
                                        ; implicit-def: $vgpr55
                                        ; implicit-def: $vgpr21
                                        ; implicit-def: $vgpr48
                                        ; implicit-def: $vgpr20
                                        ; implicit-def: $vgpr49
                                        ; implicit-def: $vgpr24
                                        ; implicit-def: $vgpr51
                                        ; implicit-def: $vgpr22
	s_and_saveexec_b64 s[2:3], vcc
	s_cbranch_execz .LBB0_11
; %bb.10:
	v_mov_b32_e32 v17, 0
	v_mov_b32_e32 v0, s13
	v_add_co_u32_e64 v2, s[0:1], s12, v18
	v_addc_co_u32_e64 v3, s[0:1], v0, v19, s[0:1]
	v_lshlrev_b64 v[0:1], 2, v[16:17]
	v_add_co_u32_e64 v29, s[0:1], v2, v0
	v_addc_co_u32_e64 v30, s[0:1], v3, v1, s[0:1]
	s_movk_i32 s0, 0x1000
	v_add_co_u32_e64 v31, s[0:1], s0, v29
	global_load_dword v26, v[29:30], off offset:2704
	global_load_dword v27, v[29:30], off offset:2912
	;; [unrolled: 1-line block ×3, first 2 shown]
	global_load_dword v0, v[29:30], off
	global_load_dword v3, v[29:30], off offset:208
	global_load_dword v1, v[29:30], off offset:416
	;; [unrolled: 1-line block ×7, first 2 shown]
	v_addc_co_u32_e64 v32, s[0:1], 0, v30, s[0:1]
	global_load_dword v17, v[29:30], off offset:3328
	global_load_dword v15, v[29:30], off offset:3536
	;; [unrolled: 1-line block ×15, first 2 shown]
	s_waitcnt vmcnt(14)
	v_lshrrev_b32_e32 v29, 16, v17
	v_lshrrev_b32_e32 v11, 16, v26
	;; [unrolled: 1-line block ×4, first 2 shown]
	s_waitcnt vmcnt(13)
	v_lshrrev_b32_e32 v47, 16, v15
	s_waitcnt vmcnt(12)
	v_lshrrev_b32_e32 v44, 16, v12
	;; [unrolled: 2-line block ×9, first 2 shown]
.LBB0_11:
	s_or_b64 exec, exec, s[2:3]
	v_sub_f16_e32 v26, v0, v26
	v_fma_f16 v30, v0, 2.0, -v26
	v_sub_f16_e32 v28, v1, v28
	v_pack_b32_f16 v26, v30, v26
	v_fma_f16 v30, v1, 2.0, -v28
	v_pack_b32_f16 v28, v30, v28
	v_lshl_add_u32 v57, v16, 2, 0
	v_sub_f16_e32 v17, v14, v17
	ds_write2_b32 v57, v26, v28 offset1:104
	v_lshrrev_b32_e32 v28, 16, v14
	v_fma_f16 v14, v14, 2.0, -v17
	v_sub_f16_e32 v25, v10, v25
	v_pack_b32_f16 v14, v14, v17
	v_fma_f16 v17, v10, 2.0, -v25
	v_pack_b32_f16 v17, v17, v25
	v_add_u32_e32 v58, 0x200, v57
	v_sub_f16_e32 v13, v54, v13
	ds_write2_b32 v58, v14, v17 offset0:28 offset1:236
	v_fma_f16 v17, v54, 2.0, -v13
	v_sub_f16_e32 v21, v53, v21
	v_pack_b32_f16 v13, v17, v13
	v_fma_f16 v17, v53, 2.0, -v21
	v_pack_b32_f16 v17, v17, v21
	v_add_u32_e32 v59, 0x400, v57
	v_sub_f16_e32 v25, v5, v9
	v_sub_f16_e32 v9, v7, v20
	ds_write2_b32 v59, v13, v17 offset0:160 offset1:212
	v_fma_f16 v17, v7, 2.0, -v9
	v_sub_f16_e32 v20, v45, v24
	v_pack_b32_f16 v9, v17, v9
	v_fma_f16 v17, v45, 2.0, -v20
	v_pack_b32_f16 v17, v17, v20
	v_add_u32_e32 v60, 0x800, v57
	ds_write2_b32 v60, v9, v17 offset0:8 offset1:60
	v_lshrrev_b32_e32 v9, 16, v10
	v_sub_f16_e32 v27, v3, v27
	v_sub_f16_e32 v10, v9, v23
	v_fma_f16 v26, v3, 2.0, -v27
	v_sub_f16_e32 v12, v4, v12
	v_fma_f16 v23, v9, 2.0, -v10
	v_add_u32_e32 v9, 52, v16
	v_fma_f16 v13, v4, 2.0, -v12
	v_pack_b32_f16 v17, v26, v27
	v_lshl_add_u32 v61, v9, 2, 0
	v_add_u32_e32 v20, 0x104, v16
	v_fma_f16 v24, v5, 2.0, -v25
	ds_write_b32 v61, v17
	v_pack_b32_f16 v12, v13, v12
	v_lshl_add_u32 v63, v20, 2, 0
	v_add_u32_e32 v17, 0x138, v16
	v_lshrrev_b32_e32 v3, 16, v3
	v_sub_f16_e32 v15, v2, v15
	s_waitcnt vmcnt(0)
	v_sub_f16_e32 v22, v50, v22
	ds_write_b32 v63, v12
	v_pack_b32_f16 v12, v24, v25
	v_lshl_add_u32 v64, v17, 2, 0
	v_sub_f16_e32 v52, v3, v52
	v_sub_f16_e32 v29, v28, v29
	v_fma_f16 v14, v2, 2.0, -v15
	v_add_u32_e32 v21, 0xd0, v16
	ds_write_b32 v64, v12
	v_fma_f16 v12, v50, 2.0, -v22
	v_fma_f16 v3, v3, 2.0, -v52
	;; [unrolled: 1-line block ×3, first 2 shown]
	v_pack_b32_f16 v14, v14, v15
	v_lshl_add_u32 v62, v21, 2, 0
	v_pack_b32_f16 v12, v12, v22
	v_lshl_add_u32 v22, v16, 1, 0
	v_pack_b32_f16 v3, v3, v52
	v_lshrrev_b32_e32 v0, 16, v0
	ds_write_b32 v62, v14
	ds_write_b32 v57, v12 offset:2496
	s_waitcnt lgkmcnt(0)
	; wave barrier
	s_waitcnt lgkmcnt(0)
	ds_read_u16 v12, v22
	ds_read_u16 v36, v22 offset:832
	v_pack_b32_f16 v65, v28, v29
	v_pack_b32_f16 v66, v23, v10
	ds_read_u16 v28, v22 offset:1664
	ds_read_u16 v35, v22 offset:728
	;; [unrolled: 1-line block ×24, first 2 shown]
	s_waitcnt lgkmcnt(0)
	; wave barrier
	s_waitcnt lgkmcnt(0)
	ds_write_b32 v61, v3
	v_sub_f16_e32 v3, v0, v11
	v_fma_f16 v0, v0, 2.0, -v3
	v_lshrrev_b32_e32 v1, 16, v1
	v_pack_b32_f16 v0, v0, v3
	v_sub_f16_e32 v3, v1, v46
	v_fma_f16 v1, v1, 2.0, -v3
	v_pack_b32_f16 v1, v1, v3
	ds_write2_b32 v57, v0, v1 offset1:104
	v_lshrrev_b32_e32 v0, 16, v2
	v_sub_f16_e32 v1, v0, v47
	v_fma_f16 v0, v0, 2.0, -v1
	v_pack_b32_f16 v0, v0, v1
	ds_write_b32 v62, v0
	v_lshrrev_b32_e32 v0, 16, v4
	v_sub_f16_e32 v1, v0, v44
	v_fma_f16 v0, v0, 2.0, -v1
	v_pack_b32_f16 v0, v0, v1
	ds_write_b32 v63, v0
	;; [unrolled: 5-line block ×3, first 2 shown]
	v_lshrrev_b32_e32 v0, 16, v7
	v_lshrrev_b32_e32 v2, 16, v45
	v_sub_f16_e32 v1, v0, v48
	v_sub_f16_e32 v3, v2, v49
	v_lshrrev_b32_e32 v4, 16, v50
	v_fma_f16 v0, v0, 2.0, -v1
	v_fma_f16 v2, v2, 2.0, -v3
	v_sub_f16_e32 v5, v4, v51
	v_lshrrev_b32_e32 v54, 16, v54
	v_lshrrev_b32_e32 v53, 16, v53
	v_fma_f16 v4, v4, 2.0, -v5
	v_pack_b32_f16 v0, v0, v1
	v_pack_b32_f16 v1, v2, v3
	v_sub_f16_e32 v56, v54, v56
	v_sub_f16_e32 v55, v53, v55
	ds_write2_b32 v60, v0, v1 offset0:8 offset1:60
	v_pack_b32_f16 v0, v4, v5
	v_and_b32_e32 v11, 1, v16
	v_fma_f16 v54, v54, 2.0, -v56
	v_fma_f16 v53, v53, 2.0, -v55
	ds_write_b32 v57, v0 offset:2496
	v_mul_u32_u24_e32 v0, 12, v11
	v_pack_b32_f16 v54, v54, v56
	v_pack_b32_f16 v53, v53, v55
	v_lshlrev_b32_e32 v46, 2, v0
	ds_write2_b32 v58, v65, v66 offset0:28 offset1:236
	ds_write2_b32 v59, v54, v53 offset0:160 offset1:212
	s_waitcnt lgkmcnt(0)
	; wave barrier
	s_waitcnt lgkmcnt(0)
	global_load_dwordx4 v[4:7], v46, s[8:9]
	global_load_dwordx4 v[0:3], v46, s[8:9] offset:16
	ds_read_u16 v47, v22 offset:208
	ds_read_u16 v45, v22 offset:312
	;; [unrolled: 1-line block ×6, first 2 shown]
	ds_read_u16 v48, v22
	ds_read_u16 v54, v22 offset:104
	global_load_dwordx4 v[61:64], v46, s[8:9] offset:32
	s_movk_i32 s24, 0x3b15
	s_movk_i32 s21, 0x388b
	;; [unrolled: 1-line block ×3, first 2 shown]
	s_mov_b32 s22, 0xb5ac
	s_mov_b32 s23, 0xb9fd
	;; [unrolled: 1-line block ×4, first 2 shown]
	s_movk_i32 s16, 0x3770
	s_mov_b32 s7, 0xba95
	s_movk_i32 s6, 0x3a95
	s_mov_b32 s5, 0xbbf1
	s_movk_i32 s4, 0x3bf1
	s_mov_b32 s10, 0xbb7b
	s_movk_i32 s11, 0x3b7b
	s_mov_b32 s14, 0xb94e
	s_movk_i32 s15, 0x394e
	s_mov_b32 s18, 0xb3a8
	s_movk_i32 s19, 0x33a8
	v_cmp_gt_u32_e64 s[0:1], 26, v16
	s_mov_b32 s26, 0x3b15388b
	s_mov_b32 s27, 0x388bb5ac
	;; [unrolled: 1-line block ×10, first 2 shown]
	s_waitcnt vmcnt(2) lgkmcnt(7)
	v_mul_f16_sdwa v52, v47, v4 dst_sel:DWORD dst_unused:UNUSED_PAD src0_sel:DWORD src1_sel:WORD_1
	v_fma_f16 v46, v43, v4, v52
	v_mul_f16_sdwa v43, v43, v4 dst_sel:DWORD dst_unused:UNUSED_PAD src0_sel:DWORD src1_sel:WORD_1
	v_fma_f16 v43, v47, v4, -v43
	s_waitcnt lgkmcnt(2)
	v_mul_f16_sdwa v47, v51, v5 dst_sel:DWORD dst_unused:UNUSED_PAD src0_sel:DWORD src1_sel:WORD_1
	v_fma_f16 v47, v42, v5, v47
	v_mul_f16_sdwa v42, v42, v5 dst_sel:DWORD dst_unused:UNUSED_PAD src0_sel:DWORD src1_sel:WORD_1
	v_fma_f16 v42, v51, v5, -v42
	v_mul_f16_sdwa v51, v50, v6 dst_sel:DWORD dst_unused:UNUSED_PAD src0_sel:DWORD src1_sel:WORD_1
	v_fma_f16 v51, v41, v6, v51
	v_mul_f16_sdwa v41, v41, v6 dst_sel:DWORD dst_unused:UNUSED_PAD src0_sel:DWORD src1_sel:WORD_1
	v_fma_f16 v41, v50, v6, -v41
	ds_read_u16 v50, v22 offset:832
	ds_read_u16 v52, v22 offset:936
	ds_read_u16 v65, v22 offset:1560
	ds_read_u16 v66, v22 offset:1456
	ds_read_u16 v67, v22 offset:1352
	ds_read_u16 v68, v22 offset:1248
	ds_read_u16 v69, v22 offset:1144
	ds_read_u16 v70, v22 offset:1040
	s_waitcnt lgkmcnt(7)
	v_mul_f16_sdwa v53, v50, v7 dst_sel:DWORD dst_unused:UNUSED_PAD src0_sel:DWORD src1_sel:WORD_1
	v_fma_f16 v71, v36, v7, v53
	v_mul_f16_sdwa v36, v36, v7 dst_sel:DWORD dst_unused:UNUSED_PAD src0_sel:DWORD src1_sel:WORD_1
	v_fma_f16 v36, v50, v7, -v36
	v_mul_f16_sdwa v50, v45, v4 dst_sel:DWORD dst_unused:UNUSED_PAD src0_sel:DWORD src1_sel:WORD_1
	v_fma_f16 v59, v40, v4, v50
	v_mul_f16_sdwa v40, v40, v4 dst_sel:DWORD dst_unused:UNUSED_PAD src0_sel:DWORD src1_sel:WORD_1
	v_fma_f16 v60, v45, v4, -v40
	;; [unrolled: 4-line block ×4, first 2 shown]
	s_waitcnt lgkmcnt(6)
	v_mul_f16_sdwa v4, v52, v7 dst_sel:DWORD dst_unused:UNUSED_PAD src0_sel:DWORD src1_sel:WORD_1
	v_fma_f16 v53, v39, v7, v4
	v_mul_f16_sdwa v4, v39, v7 dst_sel:DWORD dst_unused:UNUSED_PAD src0_sel:DWORD src1_sel:WORD_1
	v_fma_f16 v7, v52, v7, -v4
	s_waitcnt vmcnt(1) lgkmcnt(0)
	v_mul_f16_sdwa v4, v70, v0 dst_sel:DWORD dst_unused:UNUSED_PAD src0_sel:DWORD src1_sel:WORD_1
	v_fma_f16 v35, v37, v0, v4
	v_mul_f16_sdwa v4, v37, v0 dst_sel:DWORD dst_unused:UNUSED_PAD src0_sel:DWORD src1_sel:WORD_1
	v_fma_f16 v37, v70, v0, -v4
	v_mul_f16_sdwa v4, v68, v1 dst_sel:DWORD dst_unused:UNUSED_PAD src0_sel:DWORD src1_sel:WORD_1
	v_fma_f16 v38, v34, v1, v4
	v_mul_f16_sdwa v4, v34, v1 dst_sel:DWORD dst_unused:UNUSED_PAD src0_sel:DWORD src1_sel:WORD_1
	v_fma_f16 v34, v68, v1, -v4
	;; [unrolled: 4-line block ×3, first 2 shown]
	ds_read_u16 v4, v22 offset:1664
	ds_read_u16 v40, v22 offset:1768
	;; [unrolled: 1-line block ×8, first 2 shown]
	s_waitcnt lgkmcnt(7)
	v_mul_f16_sdwa v5, v4, v3 dst_sel:DWORD dst_unused:UNUSED_PAD src0_sel:DWORD src1_sel:WORD_1
	v_fma_f16 v68, v28, v3, v5
	v_mul_f16_sdwa v5, v28, v3 dst_sel:DWORD dst_unused:UNUSED_PAD src0_sel:DWORD src1_sel:WORD_1
	v_fma_f16 v70, v4, v3, -v5
	v_mul_f16_sdwa v4, v69, v0 dst_sel:DWORD dst_unused:UNUSED_PAD src0_sel:DWORD src1_sel:WORD_1
	v_fma_f16 v5, v32, v0, v4
	v_mul_f16_sdwa v4, v32, v0 dst_sel:DWORD dst_unused:UNUSED_PAD src0_sel:DWORD src1_sel:WORD_1
	v_fma_f16 v6, v69, v0, -v4
	v_mul_f16_sdwa v0, v67, v1 dst_sel:DWORD dst_unused:UNUSED_PAD src0_sel:DWORD src1_sel:WORD_1
	v_mul_f16_sdwa v4, v30, v1 dst_sel:DWORD dst_unused:UNUSED_PAD src0_sel:DWORD src1_sel:WORD_1
	v_fma_f16 v0, v30, v1, v0
	v_fma_f16 v1, v67, v1, -v4
	v_mul_f16_sdwa v4, v65, v2 dst_sel:DWORD dst_unused:UNUSED_PAD src0_sel:DWORD src1_sel:WORD_1
	v_fma_f16 v4, v27, v2, v4
	v_mul_f16_sdwa v27, v27, v2 dst_sel:DWORD dst_unused:UNUSED_PAD src0_sel:DWORD src1_sel:WORD_1
	v_fma_f16 v2, v65, v2, -v27
	s_waitcnt lgkmcnt(6)
	v_mul_f16_sdwa v27, v40, v3 dst_sel:DWORD dst_unused:UNUSED_PAD src0_sel:DWORD src1_sel:WORD_1
	v_mul_f16_sdwa v28, v31, v3 dst_sel:DWORD dst_unused:UNUSED_PAD src0_sel:DWORD src1_sel:WORD_1
	v_fma_f16 v27, v31, v3, v27
	v_fma_f16 v3, v40, v3, -v28
	s_waitcnt vmcnt(0) lgkmcnt(0)
	v_mul_f16_sdwa v28, v66, v61 dst_sel:DWORD dst_unused:UNUSED_PAD src0_sel:DWORD src1_sel:WORD_1
	v_fma_f16 v30, v29, v61, v28
	v_mul_f16_sdwa v28, v29, v61 dst_sel:DWORD dst_unused:UNUSED_PAD src0_sel:DWORD src1_sel:WORD_1
	v_fma_f16 v29, v66, v61, -v28
	v_mul_f16_sdwa v28, v50, v62 dst_sel:DWORD dst_unused:UNUSED_PAD src0_sel:DWORD src1_sel:WORD_1
	v_fma_f16 v31, v26, v62, v28
	ds_read_u16 v28, v22 offset:2496
	v_mul_f16_sdwa v26, v26, v62 dst_sel:DWORD dst_unused:UNUSED_PAD src0_sel:DWORD src1_sel:WORD_1
	v_fma_f16 v32, v50, v62, -v26
	v_mul_f16_sdwa v26, v45, v63 dst_sel:DWORD dst_unused:UNUSED_PAD src0_sel:DWORD src1_sel:WORD_1
	v_fma_f16 v40, v24, v63, v26
	v_mul_f16_sdwa v24, v24, v63 dst_sel:DWORD dst_unused:UNUSED_PAD src0_sel:DWORD src1_sel:WORD_1
	v_fma_f16 v45, v45, v63, -v24
	ds_read_u16 v24, v22 offset:2600
	s_waitcnt lgkmcnt(1)
	v_mul_f16_sdwa v26, v28, v64 dst_sel:DWORD dst_unused:UNUSED_PAD src0_sel:DWORD src1_sel:WORD_1
	v_fma_f16 v50, v25, v64, v26
	v_mul_f16_sdwa v25, v25, v64 dst_sel:DWORD dst_unused:UNUSED_PAD src0_sel:DWORD src1_sel:WORD_1
	v_fma_f16 v25, v28, v64, -v25
	v_mul_f16_sdwa v28, v49, v62 dst_sel:DWORD dst_unused:UNUSED_PAD src0_sel:DWORD src1_sel:WORD_1
	v_mul_f16_sdwa v26, v52, v61 dst_sel:DWORD dst_unused:UNUSED_PAD src0_sel:DWORD src1_sel:WORD_1
	v_fma_f16 v28, v15, v62, v28
	v_mul_f16_sdwa v15, v15, v62 dst_sel:DWORD dst_unused:UNUSED_PAD src0_sel:DWORD src1_sel:WORD_1
	v_fma_f16 v26, v23, v61, v26
	v_mul_f16_sdwa v23, v23, v61 dst_sel:DWORD dst_unused:UNUSED_PAD src0_sel:DWORD src1_sel:WORD_1
	v_fma_f16 v15, v49, v62, -v15
	v_mul_f16_sdwa v49, v44, v63 dst_sel:DWORD dst_unused:UNUSED_PAD src0_sel:DWORD src1_sel:WORD_1
	v_fma_f16 v23, v52, v61, -v23
	v_fma_f16 v61, v13, v63, v49
	v_mul_f16_sdwa v13, v13, v63 dst_sel:DWORD dst_unused:UNUSED_PAD src0_sel:DWORD src1_sel:WORD_1
	v_fma_f16 v13, v44, v63, -v13
	s_waitcnt lgkmcnt(0)
	v_mul_f16_sdwa v44, v24, v64 dst_sel:DWORD dst_unused:UNUSED_PAD src0_sel:DWORD src1_sel:WORD_1
	v_add_f16_e32 v49, v48, v43
	v_fma_f16 v62, v14, v64, v44
	v_mul_f16_sdwa v14, v14, v64 dst_sel:DWORD dst_unused:UNUSED_PAD src0_sel:DWORD src1_sel:WORD_1
	v_add_f16_e32 v49, v49, v42
	v_fma_f16 v14, v24, v64, -v14
	v_add_f16_e32 v24, v12, v46
	v_add_f16_e32 v49, v49, v41
	;; [unrolled: 1-line block ×21, first 2 shown]
	v_sub_f16_e32 v25, v43, v25
	v_add_f16_e32 v24, v24, v40
	v_add_f16_e32 v44, v46, v50
	v_mul_f16_e32 v43, 0xb770, v25
	v_mul_f16_e32 v52, 0xba95, v25
	v_mul_f16_e32 v65, 0xbbf1, v25
	v_mul_f16_e32 v67, 0xbb7b, v25
	v_mul_f16_e32 v72, 0xb94e, v25
	v_mul_f16_e32 v25, 0xb3a8, v25
	v_add_f16_e32 v24, v24, v50
	v_sub_f16_e32 v46, v46, v50
	v_fma_f16 v50, v44, s24, v43
	v_fma_f16 v43, v44, s24, -v43
	v_fma_f16 v64, v44, s21, v52
	v_fma_f16 v52, v44, s21, -v52
	;; [unrolled: 2-line block ×6, first 2 shown]
	v_add_f16_e32 v44, v12, v50
	v_add_f16_e32 v43, v12, v43
	;; [unrolled: 1-line block ×12, first 2 shown]
	v_mul_f16_e32 v25, 0x3b15, v49
	v_mul_f16_e32 v75, 0x388b, v49
	;; [unrolled: 1-line block ×6, first 2 shown]
	v_fma_f16 v74, v46, s16, v25
	v_fma_f16 v25, v46, s17, v25
	;; [unrolled: 1-line block ×12, first 2 shown]
	v_add_f16_e32 v49, v48, v74
	v_add_f16_e32 v25, v48, v25
	;; [unrolled: 1-line block ×13, first 2 shown]
	v_sub_f16_e32 v40, v47, v40
	v_add_f16_e32 v47, v42, v45
	v_sub_f16_e32 v42, v42, v45
	v_mul_f16_e32 v45, 0xba95, v42
	v_fma_f16 v83, v48, s21, v45
	v_add_f16_e32 v44, v83, v44
	v_mul_f16_e32 v83, 0x388b, v47
	v_fma_f16 v45, v48, s21, -v45
	v_add_f16_e32 v43, v45, v43
	v_fma_f16 v45, v40, s7, v83
	v_add_f16_e32 v25, v45, v25
	v_mul_f16_e32 v45, 0xbb7b, v42
	v_fma_f16 v84, v40, s6, v83
	v_fma_f16 v83, v48, s22, v45
	v_add_f16_e32 v50, v83, v50
	v_mul_f16_e32 v83, 0xb5ac, v47
	v_fma_f16 v45, v48, s22, -v45
	v_add_f16_e32 v45, v45, v52
	v_fma_f16 v52, v40, s10, v83
	v_add_f16_e32 v52, v52, v75
	v_mul_f16_e32 v75, 0xb3a8, v42
	v_add_f16_e32 v49, v84, v49
	v_fma_f16 v84, v40, s11, v83
	v_fma_f16 v83, v48, s25, v75
	v_add_f16_e32 v64, v83, v64
	v_mul_f16_e32 v83, 0xbbc4, v47
	v_fma_f16 v75, v48, s25, -v75
	v_add_f16_e32 v65, v75, v65
	v_fma_f16 v75, v40, s18, v83
	v_add_f16_e32 v75, v75, v77
	v_mul_f16_e32 v77, 0x394e, v42
	v_add_f16_e32 v74, v84, v74
	;; [unrolled: 10-line block ×3, first 2 shown]
	v_fma_f16 v84, v40, s14, v83
	v_fma_f16 v83, v48, s20, v79
	v_add_f16_e32 v69, v83, v69
	v_mul_f16_e32 v83, 0x2fb7, v47
	v_fma_f16 v79, v48, s20, -v79
	v_add_f16_e32 v72, v79, v72
	v_fma_f16 v79, v40, s4, v83
	v_mul_f16_e32 v42, 0x3770, v42
	v_add_f16_e32 v79, v79, v81
	v_fma_f16 v81, v48, s24, v42
	v_mul_f16_e32 v47, 0x3b15, v47
	v_add_f16_e32 v78, v84, v78
	v_fma_f16 v84, v40, s5, v83
	v_add_f16_e32 v73, v81, v73
	v_fma_f16 v81, v40, s17, v47
	v_fma_f16 v40, v40, s16, v47
	v_fma_f16 v42, v48, s24, -v42
	v_add_f16_e32 v40, v40, v46
	v_add_f16_e32 v46, v41, v32
	v_sub_f16_e32 v32, v41, v32
	v_add_f16_e32 v12, v42, v12
	v_add_f16_e32 v42, v51, v31
	v_mul_f16_e32 v41, 0xbbf1, v32
	v_fma_f16 v47, v42, s20, v41
	v_sub_f16_e32 v31, v51, v31
	v_add_f16_e32 v44, v47, v44
	v_mul_f16_e32 v47, 0x2fb7, v46
	v_fma_f16 v41, v42, s20, -v41
	v_add_f16_e32 v41, v41, v43
	v_fma_f16 v43, v31, s5, v47
	v_fma_f16 v48, v31, s4, v47
	v_add_f16_e32 v25, v43, v25
	v_mul_f16_e32 v43, 0xb3a8, v32
	v_add_f16_e32 v48, v48, v49
	v_fma_f16 v47, v42, s25, v43
	v_mul_f16_e32 v49, 0xbbc4, v46
	v_fma_f16 v43, v42, s25, -v43
	v_add_f16_e32 v47, v47, v50
	v_fma_f16 v50, v31, s19, v49
	v_add_f16_e32 v43, v43, v45
	v_fma_f16 v45, v31, s18, v49
	v_mul_f16_e32 v49, 0x3b7b, v32
	v_fma_f16 v51, v42, s22, v49
	v_fma_f16 v49, v42, s22, -v49
	v_add_f16_e32 v49, v49, v65
	v_mul_f16_e32 v65, 0x3770, v32
	v_add_f16_e32 v50, v50, v74
	v_add_f16_e32 v45, v45, v52
	v_mul_f16_e32 v52, 0xb5ac, v46
	v_fma_f16 v74, v42, s24, v65
	v_add_f16_e32 v51, v51, v64
	v_fma_f16 v64, v31, s10, v52
	v_fma_f16 v52, v31, s11, v52
	v_add_f16_e32 v66, v74, v66
	v_mul_f16_e32 v74, 0x3b15, v46
	v_fma_f16 v65, v42, s24, -v65
	v_add_f16_e32 v52, v52, v75
	v_fma_f16 v75, v31, s17, v74
	v_add_f16_e32 v65, v65, v67
	v_fma_f16 v67, v31, s16, v74
	v_mul_f16_e32 v74, 0xba95, v32
	v_add_f16_e32 v64, v64, v76
	v_fma_f16 v76, v42, s21, v74
	v_add_f16_e32 v69, v76, v69
	v_mul_f16_e32 v76, 0x388b, v46
	v_fma_f16 v74, v42, s21, -v74
	v_mul_f16_e32 v32, 0xb94e, v32
	v_add_f16_e32 v67, v67, v77
	v_fma_f16 v77, v31, s6, v76
	v_add_f16_e32 v72, v74, v72
	v_fma_f16 v74, v31, s7, v76
	v_fma_f16 v76, v42, s23, v32
	v_mul_f16_e32 v46, 0xb9fd, v46
	v_add_f16_e32 v73, v76, v73
	v_fma_f16 v76, v31, s15, v46
	v_fma_f16 v31, v31, s14, v46
	v_fma_f16 v32, v42, s23, -v32
	v_add_f16_e32 v31, v31, v40
	v_add_f16_e32 v40, v36, v29
	v_sub_f16_e32 v29, v36, v29
	v_add_f16_e32 v12, v32, v12
	v_add_f16_e32 v32, v71, v30
	v_mul_f16_e32 v36, 0xbb7b, v29
	v_fma_f16 v42, v32, s22, v36
	v_sub_f16_e32 v30, v71, v30
	v_add_f16_e32 v42, v42, v44
	v_mul_f16_e32 v44, 0xb5ac, v40
	v_fma_f16 v36, v32, s22, -v36
	v_add_f16_e32 v36, v36, v41
	v_fma_f16 v41, v30, s10, v44
	v_add_f16_e32 v25, v41, v25
	v_mul_f16_e32 v41, 0x394e, v29
	v_fma_f16 v46, v30, s11, v44
	v_fma_f16 v44, v32, s23, v41
	v_add_f16_e32 v44, v44, v47
	v_mul_f16_e32 v47, 0xb9fd, v40
	v_fma_f16 v41, v32, s23, -v41
	v_add_f16_e32 v41, v41, v43
	v_fma_f16 v43, v30, s15, v47
	v_add_f16_e32 v46, v46, v48
	v_fma_f16 v48, v30, s14, v47
	v_add_f16_e32 v43, v43, v45
	v_mul_f16_e32 v45, 0x3770, v29
	v_add_f16_e32 v48, v48, v50
	v_fma_f16 v47, v32, s24, v45
	v_mul_f16_e32 v50, 0x3b15, v40
	v_fma_f16 v45, v32, s24, -v45
	v_add_f16_e32 v47, v47, v51
	v_fma_f16 v51, v30, s17, v50
	v_add_f16_e32 v45, v45, v49
	v_fma_f16 v49, v30, s16, v50
	v_mul_f16_e32 v50, 0xbbf1, v29
	v_add_f16_e32 v51, v51, v64
	v_add_f16_e32 v49, v49, v52
	v_fma_f16 v52, v32, s20, v50
	v_mul_f16_e32 v64, 0x2fb7, v40
	v_fma_f16 v50, v32, s20, -v50
	v_add_f16_e32 v52, v52, v66
	v_fma_f16 v66, v30, s4, v64
	v_add_f16_e32 v50, v50, v65
	v_fma_f16 v64, v30, s5, v64
	v_mul_f16_e32 v65, 0x33a8, v29
	v_add_f16_e32 v64, v64, v67
	v_fma_f16 v67, v32, s25, v65
	v_fma_f16 v65, v32, s25, -v65
	v_mul_f16_e32 v29, 0x3a95, v29
	v_add_f16_e32 v67, v67, v69
	v_mul_f16_e32 v69, 0xbbc4, v40
	v_add_f16_e32 v65, v65, v72
	v_fma_f16 v72, v32, s21, v29
	v_mul_f16_e32 v40, 0x388b, v40
	v_fma_f16 v29, v32, s21, -v29
	v_add_f16_e32 v12, v29, v12
	v_fma_f16 v29, v30, s6, v40
	v_fma_f16 v71, v30, s18, v69
	;; [unrolled: 1-line block ×3, first 2 shown]
	v_add_f16_e32 v72, v72, v73
	v_fma_f16 v73, v30, s7, v40
	v_add_f16_e32 v29, v29, v31
	v_add_f16_e32 v30, v35, v68
	v_sub_f16_e32 v31, v35, v68
	v_sub_f16_e32 v35, v37, v70
	v_add_f16_e32 v32, v37, v70
	v_mul_f16_e32 v37, 0xb94e, v35
	v_fma_f16 v40, v30, s23, v37
	v_add_f16_e32 v40, v40, v42
	v_mul_f16_e32 v42, 0xb9fd, v32
	v_fma_f16 v37, v30, s23, -v37
	v_add_f16_e32 v36, v37, v36
	v_fma_f16 v37, v31, s14, v42
	v_add_f16_e32 v25, v37, v25
	v_mul_f16_e32 v37, 0x3bf1, v35
	v_fma_f16 v68, v31, s15, v42
	v_fma_f16 v42, v30, s20, v37
	v_add_f16_e32 v42, v42, v44
	v_mul_f16_e32 v44, 0x2fb7, v32
	v_fma_f16 v37, v30, s20, -v37
	v_add_f16_e32 v37, v37, v41
	v_fma_f16 v41, v31, s4, v44
	v_add_f16_e32 v41, v41, v43
	v_mul_f16_e32 v43, 0xba95, v35
	v_add_f16_e32 v46, v68, v46
	v_fma_f16 v68, v31, s5, v44
	v_fma_f16 v44, v30, s21, v43
	v_add_f16_e32 v44, v44, v47
	v_mul_f16_e32 v47, 0x388b, v32
	v_fma_f16 v43, v30, s21, -v43
	v_add_f16_e32 v48, v68, v48
	v_fma_f16 v68, v31, s6, v47
	v_add_f16_e32 v43, v43, v45
	v_fma_f16 v45, v31, s7, v47
	v_mul_f16_e32 v47, 0x33a8, v35
	v_add_f16_e32 v45, v45, v49
	v_fma_f16 v49, v30, s25, v47
	v_add_f16_e32 v49, v49, v52
	v_mul_f16_e32 v52, 0xbbc4, v32
	v_fma_f16 v47, v30, s25, -v47
	v_add_f16_e32 v51, v68, v51
	v_fma_f16 v68, v31, s18, v52
	v_add_f16_e32 v47, v47, v50
	v_fma_f16 v50, v31, s19, v52
	v_mul_f16_e32 v52, 0x3770, v35
	v_add_f16_e32 v75, v75, v78
	v_add_f16_e32 v50, v50, v64
	v_fma_f16 v64, v30, s24, v52
	v_add_f16_e32 v74, v74, v79
	v_add_f16_e32 v66, v66, v75
	;; [unrolled: 1-line block ×3, first 2 shown]
	v_mul_f16_e32 v67, 0x3b15, v32
	v_fma_f16 v52, v30, s24, -v52
	v_mul_f16_e32 v35, 0xbb7b, v35
	v_add_f16_e32 v69, v69, v74
	v_add_f16_e32 v66, v68, v66
	v_fma_f16 v68, v31, s17, v67
	v_add_f16_e32 v52, v52, v65
	v_fma_f16 v65, v31, s16, v67
	v_fma_f16 v67, v30, s22, v35
	v_mul_f16_e32 v32, 0xb5ac, v32
	v_fma_f16 v30, v30, s22, -v35
	v_add_f16_e32 v65, v65, v69
	v_fma_f16 v69, v31, s11, v32
	v_add_f16_e32 v12, v30, v12
	v_fma_f16 v30, v31, s10, v32
	v_add_f16_e32 v32, v34, v33
	v_sub_f16_e32 v33, v34, v33
	v_add_f16_e32 v80, v84, v80
	v_add_f16_e32 v29, v30, v29
	;; [unrolled: 1-line block ×3, first 2 shown]
	v_mul_f16_e32 v34, 0xb3a8, v33
	v_add_f16_e32 v77, v77, v80
	v_sub_f16_e32 v31, v38, v39
	v_fma_f16 v35, v30, s25, v34
	v_mul_f16_e32 v38, 0xbbc4, v32
	v_fma_f16 v34, v30, s25, -v34
	v_add_f16_e32 v71, v71, v77
	v_add_f16_e32 v34, v34, v36
	v_fma_f16 v36, v31, s18, v38
	v_add_f16_e32 v81, v81, v82
	v_add_f16_e32 v68, v68, v71
	;; [unrolled: 1-line block ×3, first 2 shown]
	v_mul_f16_e32 v25, 0x3770, v33
	v_add_f16_e32 v76, v76, v81
	v_fma_f16 v39, v31, s19, v38
	v_fma_f16 v36, v30, s24, v25
	v_mul_f16_e32 v38, 0x3b15, v32
	v_fma_f16 v25, v30, s24, -v25
	v_add_f16_e32 v73, v73, v76
	v_add_f16_e32 v25, v25, v37
	v_fma_f16 v37, v31, s16, v38
	v_add_f16_e32 v69, v69, v73
	v_add_f16_e32 v70, v39, v46
	v_fma_f16 v39, v31, s17, v38
	v_add_f16_e32 v73, v37, v41
	v_mul_f16_e32 v37, 0xb94e, v33
	v_add_f16_e32 v67, v67, v72
	v_add_f16_e32 v72, v39, v48
	v_fma_f16 v38, v30, s23, v37
	v_mul_f16_e32 v39, 0xb9fd, v32
	v_fma_f16 v37, v30, s23, -v37
	v_mul_f16_e32 v41, 0x388b, v32
	v_add_f16_e32 v35, v35, v40
	v_add_f16_e32 v36, v36, v42
	v_fma_f16 v40, v31, s15, v39
	v_add_f16_e32 v37, v37, v43
	v_fma_f16 v39, v31, s14, v39
	v_fma_f16 v42, v31, s7, v41
	;; [unrolled: 1-line block ×3, first 2 shown]
	v_mul_f16_e32 v43, 0xb5ac, v32
	v_add_f16_e32 v38, v38, v44
	v_add_f16_e32 v75, v39, v45
	v_mul_f16_e32 v39, 0x3a95, v33
	v_add_f16_e32 v76, v41, v50
	v_mul_f16_e32 v41, 0xbb7b, v33
	v_fma_f16 v44, v31, s11, v43
	v_fma_f16 v43, v31, s10, v43
	v_mul_f16_e32 v33, 0x3bf1, v33
	v_add_f16_e32 v74, v40, v51
	v_fma_f16 v40, v30, s21, v39
	v_add_f16_e32 v66, v42, v66
	v_fma_f16 v39, v30, s21, -v39
	v_fma_f16 v42, v30, s22, v41
	v_fma_f16 v41, v30, s22, -v41
	v_add_f16_e32 v65, v43, v65
	v_fma_f16 v43, v30, s20, v33
	v_mul_f16_e32 v32, 0x2fb7, v32
	v_fma_f16 v30, v30, s20, -v33
	v_add_f16_e32 v12, v30, v12
	v_fma_f16 v30, v31, s4, v32
	v_add_f16_e32 v42, v42, v64
	v_add_f16_e32 v64, v44, v68
	;; [unrolled: 1-line block ×3, first 2 shown]
	v_sub_f16_e32 v30, v60, v14
	v_fma_f16 v44, v31, s5, v32
	v_add_f16_e32 v29, v59, v62
	v_mul_f16_e32 v31, 0xb770, v30
	v_add_f16_e32 v40, v40, v49
	v_add_f16_e32 v39, v39, v47
	;; [unrolled: 1-line block ×3, first 2 shown]
	v_fma_f16 v32, v29, s24, v31
	v_mul_f16_e32 v33, 0xba95, v30
	v_mul_f16_e32 v45, 0xbbf1, v30
	;; [unrolled: 1-line block ×5, first 2 shown]
	v_sub_f16_e32 v52, v58, v13
	v_add_f16_e32 v43, v43, v67
	v_add_f16_e32 v67, v44, v69
	v_fma_f16 v31, v29, s24, -v31
	v_fma_f16 v44, v29, s21, v33
	v_fma_f16 v33, v29, s21, -v33
	v_fma_f16 v46, v29, s20, v45
	;; [unrolled: 2-line block ×5, first 2 shown]
	v_fma_f16 v29, v29, s25, -v30
	v_add_f16_e32 v30, v10, v32
	v_add_f16_e32 v32, v57, v61
	v_mul_f16_e32 v69, 0xba95, v52
	v_fma_f16 v77, v32, s21, v69
	v_add_f16_e32 v31, v10, v31
	v_fma_f16 v69, v32, s21, -v69
	v_add_f16_e32 v31, v69, v31
	v_mul_f16_e32 v69, 0xbb7b, v52
	v_add_f16_e32 v30, v77, v30
	v_fma_f16 v77, v32, s22, v69
	v_add_f16_e32 v33, v10, v33
	v_fma_f16 v69, v32, s22, -v69
	v_add_f16_e32 v44, v10, v44
	v_add_f16_e32 v33, v69, v33
	v_mul_f16_e32 v69, 0xb3a8, v52
	v_add_f16_e32 v44, v77, v44
	v_fma_f16 v77, v32, s25, v69
	v_add_f16_e32 v45, v10, v45
	v_fma_f16 v69, v32, s25, -v69
	v_add_f16_e32 v46, v10, v46
	;; [unrolled: 7-line block ×3, first 2 shown]
	v_add_f16_e32 v47, v69, v47
	v_mul_f16_e32 v69, 0x3bf1, v52
	v_add_f16_e32 v48, v77, v48
	v_fma_f16 v77, v32, s20, v69
	v_add_f16_e32 v49, v10, v49
	v_fma_f16 v69, v32, s20, -v69
	v_mul_f16_e32 v52, 0x3770, v52
	v_add_f16_e32 v49, v69, v49
	v_add_f16_e32 v51, v10, v51
	v_fma_f16 v69, v32, s24, v52
	v_fma_f16 v32, v32, s24, -v52
	v_add_f16_e32 v29, v10, v29
	v_sub_f16_e32 v52, v56, v15
	v_add_f16_e32 v50, v10, v50
	v_add_f16_e32 v51, v69, v51
	;; [unrolled: 1-line block ×4, first 2 shown]
	v_mul_f16_e32 v69, 0xbbf1, v52
	v_add_f16_e32 v50, v77, v50
	v_fma_f16 v77, v32, s20, v69
	v_fma_f16 v69, v32, s20, -v69
	v_add_f16_e32 v31, v69, v31
	v_mul_f16_e32 v69, 0xb3a8, v52
	v_add_f16_e32 v30, v77, v30
	v_fma_f16 v77, v32, s25, v69
	v_fma_f16 v69, v32, s25, -v69
	v_add_f16_e32 v33, v69, v33
	v_mul_f16_e32 v69, 0x3b7b, v52
	v_add_f16_e32 v44, v77, v44
	v_fma_f16 v77, v32, s22, v69
	v_fma_f16 v69, v32, s22, -v69
	v_add_f16_e32 v45, v69, v45
	v_mul_f16_e32 v69, 0x3770, v52
	v_add_f16_e32 v46, v77, v46
	v_fma_f16 v77, v32, s24, v69
	v_fma_f16 v69, v32, s24, -v69
	v_add_f16_e32 v47, v69, v47
	v_mul_f16_e32 v69, 0xba95, v52
	v_add_f16_e32 v48, v77, v48
	v_fma_f16 v77, v32, s21, v69
	v_fma_f16 v69, v32, s21, -v69
	v_mul_f16_e32 v52, 0xb94e, v52
	v_add_f16_e32 v49, v69, v49
	v_fma_f16 v69, v32, s23, v52
	v_fma_f16 v32, v32, s23, -v52
	v_sub_f16_e32 v52, v7, v23
	v_add_f16_e32 v51, v69, v51
	v_add_f16_e32 v29, v32, v29
	v_add_f16_e32 v32, v53, v26
	v_mul_f16_e32 v69, 0xbb7b, v52
	v_add_f16_e32 v50, v77, v50
	v_fma_f16 v77, v32, s22, v69
	v_fma_f16 v69, v32, s22, -v69
	v_add_f16_e32 v31, v69, v31
	v_mul_f16_e32 v69, 0x394e, v52
	v_add_f16_e32 v30, v77, v30
	v_fma_f16 v77, v32, s23, v69
	v_fma_f16 v69, v32, s23, -v69
	v_add_f16_e32 v33, v69, v33
	v_mul_f16_e32 v69, 0x3770, v52
	v_add_f16_e32 v44, v77, v44
	v_fma_f16 v77, v32, s24, v69
	v_fma_f16 v69, v32, s24, -v69
	v_add_f16_e32 v45, v69, v45
	v_mul_f16_e32 v69, 0xbbf1, v52
	v_add_f16_e32 v46, v77, v46
	v_fma_f16 v77, v32, s20, v69
	v_fma_f16 v69, v32, s20, -v69
	v_add_f16_e32 v47, v69, v47
	v_mul_f16_e32 v69, 0x33a8, v52
	v_add_f16_e32 v48, v77, v48
	v_fma_f16 v77, v32, s25, v69
	v_fma_f16 v69, v32, s25, -v69
	v_mul_f16_e32 v52, 0x3a95, v52
	v_add_f16_e32 v49, v69, v49
	v_fma_f16 v69, v32, s21, v52
	v_fma_f16 v32, v32, s21, -v52
	v_sub_f16_e32 v52, v6, v3
	v_add_f16_e32 v51, v69, v51
	v_add_f16_e32 v29, v32, v29
	v_add_f16_e32 v32, v5, v27
	v_mul_f16_e32 v69, 0xb94e, v52
	v_add_f16_e32 v50, v77, v50
	v_fma_f16 v77, v32, s23, v69
	v_fma_f16 v69, v32, s23, -v69
	v_add_f16_e32 v31, v69, v31
	v_mul_f16_e32 v69, 0x3bf1, v52
	v_add_f16_e32 v30, v77, v30
	v_fma_f16 v77, v32, s20, v69
	v_fma_f16 v69, v32, s20, -v69
	v_add_f16_e32 v33, v69, v33
	v_mul_f16_e32 v69, 0xba95, v52
	v_add_f16_e32 v44, v77, v44
	v_fma_f16 v77, v32, s21, v69
	v_fma_f16 v69, v32, s21, -v69
	v_add_f16_e32 v45, v69, v45
	v_mul_f16_e32 v69, 0x33a8, v52
	v_add_f16_e32 v46, v77, v46
	v_fma_f16 v77, v32, s25, v69
	v_fma_f16 v69, v32, s25, -v69
	v_add_f16_e32 v47, v69, v47
	v_mul_f16_e32 v69, 0x3770, v52
	v_add_f16_e32 v48, v77, v48
	v_fma_f16 v77, v32, s24, v69
	v_fma_f16 v69, v32, s24, -v69
	v_mul_f16_e32 v52, 0xbb7b, v52
	v_add_f16_e32 v49, v69, v49
	v_fma_f16 v69, v32, s22, v52
	v_fma_f16 v32, v32, s22, -v52
	v_sub_f16_e32 v52, v1, v2
	v_add_f16_e32 v51, v69, v51
	v_add_f16_e32 v29, v32, v29
	v_add_f16_e32 v32, v0, v4
	v_mul_f16_e32 v69, 0xb3a8, v52
	v_add_f16_e32 v50, v77, v50
	v_fma_f16 v77, v32, s25, v69
	v_fma_f16 v69, v32, s25, -v69
	v_add_f16_e32 v31, v69, v31
	v_mul_f16_e32 v69, 0x3770, v52
	v_add_f16_e32 v30, v77, v30
	v_fma_f16 v77, v32, s24, v69
	v_fma_f16 v69, v32, s24, -v69
	v_add_f16_e32 v33, v69, v33
	;; [unrolled: 5-line block ×4, first 2 shown]
	v_add_f16_e32 v47, v69, v47
	v_mul_f16_e32 v69, 0xbb7b, v52
	v_add_f16_e32 v10, v10, v57
	v_add_f16_e32 v48, v77, v48
	v_fma_f16 v77, v32, s22, v69
	v_fma_f16 v69, v32, s22, -v69
	v_mul_f16_e32 v52, 0x3bf1, v52
	v_add_f16_e32 v10, v10, v55
	v_add_f16_e32 v49, v69, v49
	v_fma_f16 v69, v32, s20, v52
	v_fma_f16 v32, v32, s20, -v52
	v_add_f16_e32 v10, v10, v53
	v_add_f16_e32 v29, v32, v29
	v_lshrrev_b32_e32 v32, 1, v16
	v_add_f16_e32 v10, v10, v5
	v_mul_u32_u24_e32 v32, 26, v32
	v_add_f16_e32 v10, v10, v0
	v_or_b32_e32 v32, v32, v11
	v_add_f16_e32 v10, v10, v4
	v_add_f16_e32 v51, v69, v51
	v_lshl_add_u32 v69, v32, 1, 0
	v_add_f16_e32 v10, v10, v27
	s_waitcnt lgkmcnt(0)
	; wave barrier
	ds_write_b16 v69, v24
	ds_write_b16 v69, v35 offset:4
	ds_write_b16 v69, v36 offset:8
	;; [unrolled: 1-line block ×12, first 2 shown]
	v_lshrrev_b32_e32 v12, 1, v9
	v_add_f16_e32 v10, v10, v26
	v_mul_u32_u24_e32 v12, 26, v12
	v_add_f16_e32 v10, v10, v28
	v_or_b32_e32 v11, v12, v11
	v_add_f16_e32 v10, v10, v61
	v_add_f16_e32 v10, v10, v62
	v_lshl_add_u32 v11, v11, 1, 0
	v_add_f16_e32 v50, v77, v50
	ds_write_b16 v11, v10
	ds_write_b16 v11, v30 offset:4
	ds_write_b16 v11, v44 offset:8
	;; [unrolled: 1-line block ×12, first 2 shown]
	v_add_f16_e32 v10, v54, v60
	v_add_f16_e32 v10, v10, v58
	;; [unrolled: 1-line block ×12, first 2 shown]
	s_waitcnt lgkmcnt(0)
	; wave barrier
	s_waitcnt lgkmcnt(0)
	ds_read_u16 v25, v22
	ds_read_u16 v44, v22 offset:832
	ds_read_u16 v41, v22 offset:1664
	;; [unrolled: 1-line block ×25, first 2 shown]
	s_waitcnt lgkmcnt(0)
	; wave barrier
	s_waitcnt lgkmcnt(0)
	ds_write_b16 v69, v63
	ds_write_b16 v69, v70 offset:4
	ds_write_b16 v69, v72 offset:8
	;; [unrolled: 1-line block ×12, first 2 shown]
	v_add_f16_e32 v10, v10, v14
	v_sub_f16_e32 v14, v59, v62
	v_mul_f16_e32 v59, 0x3b15, v12
	v_mul_f16_e32 v62, 0x388b, v12
	;; [unrolled: 1-line block ×6, first 2 shown]
	v_fma_f16 v60, v14, s16, v59
	v_fma_f16 v59, v14, s17, v59
	;; [unrolled: 1-line block ×12, first 2 shown]
	v_add_f16_e32 v13, v58, v13
	v_add_f16_e32 v14, v54, v60
	;; [unrolled: 1-line block ×13, first 2 shown]
	v_sub_f16_e32 v54, v57, v61
	v_mul_f16_e32 v57, 0x388b, v13
	v_fma_f16 v58, v54, s6, v57
	v_add_f16_e32 v14, v58, v14
	v_fma_f16 v57, v54, s7, v57
	v_mul_f16_e32 v58, 0xb5ac, v13
	v_add_f16_e32 v57, v57, v59
	v_fma_f16 v59, v54, s11, v58
	v_add_f16_e32 v59, v59, v60
	v_fma_f16 v58, v54, s10, v58
	v_mul_f16_e32 v60, 0xbbc4, v13
	v_add_f16_e32 v58, v58, v62
	v_fma_f16 v61, v54, s19, v60
	v_fma_f16 v60, v54, s18, v60
	v_mul_f16_e32 v62, 0xb9fd, v13
	v_add_f16_e32 v61, v61, v63
	v_add_f16_e32 v60, v60, v64
	v_fma_f16 v63, v54, s14, v62
	v_fma_f16 v62, v54, s15, v62
	v_mul_f16_e32 v64, 0x2fb7, v13
	v_mul_f16_e32 v13, 0x3b15, v13
	v_add_f16_e32 v62, v62, v66
	v_fma_f16 v66, v54, s17, v13
	v_fma_f16 v13, v54, s16, v13
	v_add_f16_e32 v12, v13, v12
	v_add_f16_e32 v13, v56, v15
	v_sub_f16_e32 v15, v55, v28
	v_mul_f16_e32 v28, 0x2fb7, v13
	v_add_f16_e32 v63, v63, v65
	v_fma_f16 v65, v54, s5, v64
	v_fma_f16 v64, v54, s4, v64
	v_fma_f16 v54, v15, s4, v28
	v_add_f16_e32 v14, v54, v14
	v_mul_f16_e32 v54, 0xbbc4, v13
	v_fma_f16 v28, v15, s5, v28
	v_fma_f16 v55, v15, s19, v54
	;; [unrolled: 1-line block ×3, first 2 shown]
	v_mul_f16_e32 v56, 0xb5ac, v13
	v_add_f16_e32 v28, v28, v57
	v_add_f16_e32 v54, v54, v58
	v_fma_f16 v57, v15, s10, v56
	v_fma_f16 v56, v15, s11, v56
	v_mul_f16_e32 v58, 0x3b15, v13
	v_add_f16_e32 v55, v55, v59
	v_add_f16_e32 v56, v56, v60
	v_fma_f16 v59, v15, s17, v58
	v_fma_f16 v58, v15, s16, v58
	v_mul_f16_e32 v60, 0x388b, v13
	v_mul_f16_e32 v13, 0xb9fd, v13
	v_add_f16_e32 v58, v58, v62
	v_fma_f16 v62, v15, s15, v13
	v_fma_f16 v13, v15, s14, v13
	v_add_f16_e32 v7, v7, v23
	v_add_f16_e32 v57, v57, v61
	v_fma_f16 v61, v15, s6, v60
	v_fma_f16 v60, v15, s7, v60
	v_add_f16_e32 v12, v13, v12
	v_sub_f16_e32 v13, v53, v26
	v_mul_f16_e32 v15, 0xb5ac, v7
	v_fma_f16 v23, v13, s11, v15
	v_add_f16_e32 v14, v23, v14
	v_fma_f16 v15, v13, s10, v15
	v_mul_f16_e32 v23, 0xb9fd, v7
	v_add_f16_e32 v15, v15, v28
	v_fma_f16 v26, v13, s14, v23
	v_fma_f16 v23, v13, s15, v23
	v_mul_f16_e32 v28, 0x3b15, v7
	v_add_f16_e32 v23, v23, v54
	v_fma_f16 v53, v13, s17, v28
	v_fma_f16 v28, v13, s16, v28
	v_mul_f16_e32 v54, 0x2fb7, v7
	v_add_f16_e32 v26, v26, v55
	v_add_f16_e32 v28, v28, v56
	v_fma_f16 v55, v13, s4, v54
	v_fma_f16 v54, v13, s5, v54
	v_mul_f16_e32 v56, 0xbbc4, v7
	v_mul_f16_e32 v7, 0x388b, v7
	v_add_f16_e32 v3, v6, v3
	v_add_f16_e32 v54, v54, v58
	v_fma_f16 v58, v13, s7, v7
	v_fma_f16 v7, v13, s6, v7
	v_sub_f16_e32 v5, v5, v27
	v_mul_f16_e32 v6, 0xb9fd, v3
	v_add_f16_e32 v53, v53, v57
	v_fma_f16 v57, v13, s18, v56
	v_fma_f16 v56, v13, s19, v56
	v_add_f16_e32 v7, v7, v12
	v_fma_f16 v12, v5, s15, v6
	v_fma_f16 v6, v5, s14, v6
	v_mul_f16_e32 v13, 0x2fb7, v3
	v_add_f16_e32 v12, v12, v14
	v_add_f16_e32 v6, v6, v15
	v_fma_f16 v14, v5, s5, v13
	v_fma_f16 v13, v5, s4, v13
	v_mul_f16_e32 v15, 0x388b, v3
	v_add_f16_e32 v14, v14, v26
	;; [unrolled: 5-line block ×3, first 2 shown]
	v_fma_f16 v27, v5, s18, v26
	v_fma_f16 v26, v5, s19, v26
	v_mul_f16_e32 v28, 0x3b15, v3
	v_mul_f16_e32 v3, 0xb5ac, v3
	v_add_f16_e32 v1, v1, v2
	v_add_f16_e32 v26, v26, v54
	v_fma_f16 v54, v5, s11, v3
	v_fma_f16 v3, v5, s10, v3
	v_sub_f16_e32 v0, v0, v4
	v_mul_f16_e32 v2, 0xbbc4, v1
	v_add_f16_e32 v65, v65, v67
	v_add_f16_e32 v23, v23, v53
	v_fma_f16 v53, v5, s17, v28
	v_fma_f16 v28, v5, s16, v28
	v_add_f16_e32 v3, v3, v7
	v_fma_f16 v4, v0, s19, v2
	v_fma_f16 v2, v0, s18, v2
	v_mul_f16_e32 v5, 0x3b15, v1
	v_mul_f16_e32 v7, 0xb9fd, v1
	v_add_f16_e32 v64, v64, v68
	v_add_f16_e32 v66, v66, v69
	;; [unrolled: 1-line block ×5, first 2 shown]
	v_fma_f16 v6, v0, s17, v5
	v_fma_f16 v5, v0, s16, v5
	;; [unrolled: 1-line block ×4, first 2 shown]
	v_add_f16_e32 v59, v59, v63
	v_add_f16_e32 v60, v60, v64
	;; [unrolled: 1-line block ×6, first 2 shown]
	v_mul_f16_e32 v13, 0x388b, v1
	v_mul_f16_e32 v15, 0xb5ac, v1
	v_add_f16_e32 v55, v55, v59
	v_add_f16_e32 v56, v56, v60
	;; [unrolled: 1-line block ×6, first 2 shown]
	v_fma_f16 v14, v0, s7, v13
	v_fma_f16 v13, v0, s6, v13
	;; [unrolled: 1-line block ×3, first 2 shown]
	v_mul_f16_e32 v1, 0x2fb7, v1
	v_add_f16_e32 v27, v27, v55
	v_add_f16_e32 v28, v28, v56
	;; [unrolled: 1-line block ×5, first 2 shown]
	v_fma_f16 v15, v0, s10, v15
	v_fma_f16 v26, v0, s5, v1
	;; [unrolled: 1-line block ×3, first 2 shown]
	v_add_f16_e32 v14, v14, v27
	v_add_f16_e32 v15, v15, v28
	;; [unrolled: 1-line block ×4, first 2 shown]
	ds_write_b16 v11, v10
	ds_write_b16 v11, v4 offset:4
	ds_write_b16 v11, v6 offset:8
	;; [unrolled: 1-line block ×12, first 2 shown]
	v_subrev_u32_e32 v23, 26, v16
	v_cndmask_b32_e64 v26, v23, v16, s[0:1]
	v_mul_i32_i24_e32 v7, 12, v26
	v_lshlrev_b64 v[0:1], 2, v[7:8]
	v_mov_b32_e32 v2, s9
	v_add_co_u32_e64 v10, s[2:3], s8, v0
	v_addc_co_u32_e64 v11, s[2:3], v2, v1, s[2:3]
	s_waitcnt lgkmcnt(0)
	; wave barrier
	s_waitcnt lgkmcnt(0)
	global_load_dwordx4 v[4:7], v[10:11], off offset:96
	global_load_dwordx4 v[0:3], v[10:11], off offset:112
	;; [unrolled: 1-line block ×3, first 2 shown]
	s_movk_i32 s2, 0x4f
	v_mul_lo_u16_sdwa v8, v9, s2 dst_sel:DWORD dst_unused:UNUSED_PAD src0_sel:BYTE_0 src1_sel:DWORD
	v_lshrrev_b16_e32 v27, 11, v8
	v_mul_lo_u16_e32 v8, 26, v27
	v_sub_u16_e32 v28, v9, v8
	v_mov_b32_e32 v8, 12
	v_mul_u32_u24_sdwa v8, v28, v8 dst_sel:DWORD dst_unused:UNUSED_PAD src0_sel:BYTE_0 src1_sel:DWORD
	v_lshlrev_b32_e32 v55, 2, v8
	global_load_dwordx4 v[8:11], v55, s[8:9] offset:96
	ds_read_u16 v56, v22 offset:208
	ds_read_u16 v57, v22 offset:312
	;; [unrolled: 1-line block ×7, first 2 shown]
	global_load_dwordx4 v[84:87], v55, s[8:9] offset:112
	v_cmp_lt_u32_e64 s[2:3], 25, v16
	v_lshlrev_b32_e32 v26, 1, v26
	s_waitcnt vmcnt(4) lgkmcnt(6)
	v_mul_f16_sdwa v61, v56, v4 dst_sel:DWORD dst_unused:UNUSED_PAD src0_sel:DWORD src1_sel:WORD_1
	v_fma_f16 v78, v52, v4, v61
	v_mul_f16_sdwa v52, v52, v4 dst_sel:DWORD dst_unused:UNUSED_PAD src0_sel:DWORD src1_sel:WORD_1
	v_fma_f16 v79, v56, v4, -v52
	s_waitcnt lgkmcnt(1)
	v_mul_f16_sdwa v4, v60, v5 dst_sel:DWORD dst_unused:UNUSED_PAD src0_sel:DWORD src1_sel:WORD_1
	v_fma_f16 v74, v51, v5, v4
	v_mul_f16_sdwa v4, v51, v5 dst_sel:DWORD dst_unused:UNUSED_PAD src0_sel:DWORD src1_sel:WORD_1
	v_fma_f16 v75, v60, v5, -v4
	v_mul_f16_sdwa v4, v59, v6 dst_sel:DWORD dst_unused:UNUSED_PAD src0_sel:DWORD src1_sel:WORD_1
	v_fma_f16 v69, v50, v6, v4
	v_mul_f16_sdwa v4, v50, v6 dst_sel:DWORD dst_unused:UNUSED_PAD src0_sel:DWORD src1_sel:WORD_1
	v_fma_f16 v70, v59, v6, -v4
	ds_read_u16 v4, v22 offset:832
	ds_read_u16 v5, v22 offset:936
	global_load_dwordx4 v[88:91], v55, s[8:9] offset:128
	ds_read_u16 v6, v22 offset:1560
	ds_read_u16 v51, v22 offset:1456
	;; [unrolled: 1-line block ×6, first 2 shown]
	s_waitcnt lgkmcnt(7)
	v_mul_f16_sdwa v55, v4, v7 dst_sel:DWORD dst_unused:UNUSED_PAD src0_sel:DWORD src1_sel:WORD_1
	v_fma_f16 v65, v44, v7, v55
	v_mul_f16_sdwa v44, v44, v7 dst_sel:DWORD dst_unused:UNUSED_PAD src0_sel:DWORD src1_sel:WORD_1
	v_fma_f16 v66, v4, v7, -v44
	s_waitcnt vmcnt(4) lgkmcnt(0)
	v_mul_f16_sdwa v4, v56, v0 dst_sel:DWORD dst_unused:UNUSED_PAD src0_sel:DWORD src1_sel:WORD_1
	v_fma_f16 v55, v49, v0, v4
	v_mul_f16_sdwa v4, v49, v0 dst_sel:DWORD dst_unused:UNUSED_PAD src0_sel:DWORD src1_sel:WORD_1
	v_fma_f16 v56, v56, v0, -v4
	v_mul_f16_sdwa v0, v50, v1 dst_sel:DWORD dst_unused:UNUSED_PAD src0_sel:DWORD src1_sel:WORD_1
	v_fma_f16 v49, v48, v1, v0
	v_mul_f16_sdwa v0, v48, v1 dst_sel:DWORD dst_unused:UNUSED_PAD src0_sel:DWORD src1_sel:WORD_1
	v_fma_f16 v48, v50, v1, -v0
	ds_read_u16 v0, v22 offset:1664
	v_mul_f16_sdwa v1, v51, v2 dst_sel:DWORD dst_unused:UNUSED_PAD src0_sel:DWORD src1_sel:WORD_1
	v_fma_f16 v50, v47, v2, v1
	v_mul_f16_sdwa v1, v47, v2 dst_sel:DWORD dst_unused:UNUSED_PAD src0_sel:DWORD src1_sel:WORD_1
	v_fma_f16 v47, v51, v2, -v1
	ds_read_u16 v2, v22 offset:2392
	ds_read_u16 v1, v22 offset:2288
	;; [unrolled: 1-line block ×7, first 2 shown]
	s_waitcnt lgkmcnt(7)
	v_mul_f16_sdwa v61, v0, v3 dst_sel:DWORD dst_unused:UNUSED_PAD src0_sel:DWORD src1_sel:WORD_1
	v_fma_f16 v62, v41, v3, v61
	v_mul_f16_sdwa v41, v41, v3 dst_sel:DWORD dst_unused:UNUSED_PAD src0_sel:DWORD src1_sel:WORD_1
	v_fma_f16 v63, v0, v3, -v41
	s_waitcnt vmcnt(3) lgkmcnt(1)
	v_mul_f16_sdwa v0, v44, v12 dst_sel:DWORD dst_unused:UNUSED_PAD src0_sel:DWORD src1_sel:WORD_1
	v_fma_f16 v72, v46, v12, v0
	v_mul_f16_sdwa v0, v46, v12 dst_sel:DWORD dst_unused:UNUSED_PAD src0_sel:DWORD src1_sel:WORD_1
	ds_read_u16 v3, v22 offset:2496
	v_fma_f16 v73, v44, v12, -v0
	v_mul_f16_sdwa v0, v7, v13 dst_sel:DWORD dst_unused:UNUSED_PAD src0_sel:DWORD src1_sel:WORD_1
	v_fma_f16 v76, v45, v13, v0
	v_mul_f16_sdwa v0, v45, v13 dst_sel:DWORD dst_unused:UNUSED_PAD src0_sel:DWORD src1_sel:WORD_1
	v_fma_f16 v77, v7, v13, -v0
	ds_read_u16 v7, v22 offset:2600
	v_mul_f16_sdwa v0, v1, v14 dst_sel:DWORD dst_unused:UNUSED_PAD src0_sel:DWORD src1_sel:WORD_1
	v_fma_f16 v80, v42, v14, v0
	v_mul_f16_sdwa v0, v42, v14 dst_sel:DWORD dst_unused:UNUSED_PAD src0_sel:DWORD src1_sel:WORD_1
	v_fma_f16 v81, v1, v14, -v0
	s_waitcnt lgkmcnt(1)
	v_mul_f16_sdwa v0, v3, v15 dst_sel:DWORD dst_unused:UNUSED_PAD src0_sel:DWORD src1_sel:WORD_1
	v_fma_f16 v82, v43, v15, v0
	v_mul_f16_sdwa v0, v43, v15 dst_sel:DWORD dst_unused:UNUSED_PAD src0_sel:DWORD src1_sel:WORD_1
	v_fma_f16 v83, v3, v15, -v0
	s_waitcnt vmcnt(2)
	v_mul_f16_sdwa v0, v57, v8 dst_sel:DWORD dst_unused:UNUSED_PAD src0_sel:DWORD src1_sel:WORD_1
	v_fma_f16 v45, v39, v8, v0
	v_mul_f16_sdwa v0, v39, v8 dst_sel:DWORD dst_unused:UNUSED_PAD src0_sel:DWORD src1_sel:WORD_1
	v_fma_f16 v46, v57, v8, -v0
	v_mul_f16_sdwa v0, v58, v9 dst_sel:DWORD dst_unused:UNUSED_PAD src0_sel:DWORD src1_sel:WORD_1
	v_fma_f16 v43, v36, v9, v0
	v_mul_f16_sdwa v0, v36, v9 dst_sel:DWORD dst_unused:UNUSED_PAD src0_sel:DWORD src1_sel:WORD_1
	v_fma_f16 v44, v58, v9, -v0
	;; [unrolled: 4-line block ×3, first 2 shown]
	v_mul_f16_sdwa v0, v5, v11 dst_sel:DWORD dst_unused:UNUSED_PAD src0_sel:DWORD src1_sel:WORD_1
	v_fma_f16 v39, v40, v11, v0
	v_mul_f16_sdwa v0, v40, v11 dst_sel:DWORD dst_unused:UNUSED_PAD src0_sel:DWORD src1_sel:WORD_1
	s_waitcnt vmcnt(1)
	v_mul_f16_sdwa v3, v6, v86 dst_sel:DWORD dst_unused:UNUSED_PAD src0_sel:DWORD src1_sel:WORD_1
	v_fma_f16 v40, v5, v11, -v0
	v_mul_f16_sdwa v0, v59, v84 dst_sel:DWORD dst_unused:UNUSED_PAD src0_sel:DWORD src1_sel:WORD_1
	v_fma_f16 v11, v31, v86, v3
	v_mul_f16_sdwa v3, v31, v86 dst_sel:DWORD dst_unused:UNUSED_PAD src0_sel:DWORD src1_sel:WORD_1
	v_fma_f16 v33, v37, v84, v0
	v_mul_f16_sdwa v0, v37, v84 dst_sel:DWORD dst_unused:UNUSED_PAD src0_sel:DWORD src1_sel:WORD_1
	v_fma_f16 v12, v6, v86, -v3
	v_mul_f16_sdwa v3, v60, v87 dst_sel:DWORD dst_unused:UNUSED_PAD src0_sel:DWORD src1_sel:WORD_1
	v_fma_f16 v36, v59, v84, -v0
	v_mul_f16_sdwa v0, v52, v85 dst_sel:DWORD dst_unused:UNUSED_PAD src0_sel:DWORD src1_sel:WORD_1
	v_fma_f16 v31, v38, v87, v3
	v_mul_f16_sdwa v3, v38, v87 dst_sel:DWORD dst_unused:UNUSED_PAD src0_sel:DWORD src1_sel:WORD_1
	v_fma_f16 v0, v34, v85, v0
	v_mul_f16_sdwa v1, v34, v85 dst_sel:DWORD dst_unused:UNUSED_PAD src0_sel:DWORD src1_sel:WORD_1
	v_fma_f16 v34, v60, v87, -v3
	v_fma_f16 v1, v52, v85, -v1
	s_waitcnt vmcnt(0)
	v_mul_f16_sdwa v3, v51, v88 dst_sel:DWORD dst_unused:UNUSED_PAD src0_sel:DWORD src1_sel:WORD_1
	v_fma_f16 v37, v35, v88, v3
	v_mul_f16_sdwa v3, v35, v88 dst_sel:DWORD dst_unused:UNUSED_PAD src0_sel:DWORD src1_sel:WORD_1
	v_fma_f16 v35, v51, v88, -v3
	v_mul_f16_sdwa v3, v4, v89 dst_sel:DWORD dst_unused:UNUSED_PAD src0_sel:DWORD src1_sel:WORD_1
	v_fma_f16 v38, v32, v89, v3
	v_mul_f16_sdwa v3, v32, v89 dst_sel:DWORD dst_unused:UNUSED_PAD src0_sel:DWORD src1_sel:WORD_1
	v_fma_f16 v32, v4, v89, -v3
	;; [unrolled: 4-line block ×3, first 2 shown]
	s_waitcnt lgkmcnt(0)
	v_mul_f16_sdwa v2, v7, v91 dst_sel:DWORD dst_unused:UNUSED_PAD src0_sel:DWORD src1_sel:WORD_1
	v_fma_f16 v59, v30, v91, v2
	v_mul_f16_sdwa v2, v30, v91 dst_sel:DWORD dst_unused:UNUSED_PAD src0_sel:DWORD src1_sel:WORD_1
	v_sub_f16_e32 v3, v79, v83
	v_fma_f16 v60, v7, v91, -v2
	v_add_f16_e32 v2, v78, v82
	v_mul_f16_e32 v4, 0xb770, v3
	v_fma_f16 v5, v2, s24, v4
	v_mul_f16_e32 v6, 0xba95, v3
	v_mul_f16_e32 v8, 0xbbf1, v3
	;; [unrolled: 1-line block ×5, first 2 shown]
	v_sub_f16_e32 v30, v75, v81
	v_fma_f16 v4, v2, s24, -v4
	v_fma_f16 v7, v2, s21, v6
	v_fma_f16 v6, v2, s21, -v6
	v_fma_f16 v9, v2, s20, v8
	;; [unrolled: 2-line block ×5, first 2 shown]
	v_fma_f16 v2, v2, s25, -v3
	v_add_f16_e32 v3, v25, v5
	v_add_f16_e32 v5, v74, v80
	v_mul_f16_e32 v54, 0xba95, v30
	v_fma_f16 v57, v5, s21, v54
	v_add_f16_e32 v4, v25, v4
	v_fma_f16 v54, v5, s21, -v54
	v_add_f16_e32 v4, v54, v4
	v_mul_f16_e32 v54, 0xbb7b, v30
	v_add_f16_e32 v3, v57, v3
	v_fma_f16 v57, v5, s22, v54
	v_add_f16_e32 v6, v25, v6
	v_fma_f16 v54, v5, s22, -v54
	v_add_f16_e32 v7, v25, v7
	v_add_f16_e32 v6, v54, v6
	v_mul_f16_e32 v54, 0xb3a8, v30
	v_add_f16_e32 v7, v57, v7
	v_fma_f16 v57, v5, s25, v54
	v_add_f16_e32 v8, v25, v8
	v_fma_f16 v54, v5, s25, -v54
	v_add_f16_e32 v9, v25, v9
	;; [unrolled: 7-line block ×3, first 2 shown]
	v_add_f16_e32 v10, v54, v10
	v_mul_f16_e32 v54, 0x3bf1, v30
	v_add_f16_e32 v13, v57, v13
	v_fma_f16 v57, v5, s20, v54
	v_add_f16_e32 v14, v25, v14
	v_fma_f16 v54, v5, s20, -v54
	v_mul_f16_e32 v30, 0x3770, v30
	v_add_f16_e32 v14, v54, v14
	v_add_f16_e32 v29, v25, v29
	v_fma_f16 v54, v5, s24, v30
	v_fma_f16 v5, v5, s24, -v30
	v_add_f16_e32 v2, v25, v2
	v_sub_f16_e32 v30, v70, v77
	v_add_f16_e32 v15, v25, v15
	v_add_f16_e32 v29, v54, v29
	;; [unrolled: 1-line block ×4, first 2 shown]
	v_mul_f16_e32 v54, 0xbbf1, v30
	v_add_f16_e32 v15, v57, v15
	v_fma_f16 v57, v5, s20, v54
	v_fma_f16 v54, v5, s20, -v54
	v_add_f16_e32 v4, v54, v4
	v_mul_f16_e32 v54, 0xb3a8, v30
	v_add_f16_e32 v3, v57, v3
	v_fma_f16 v57, v5, s25, v54
	v_fma_f16 v54, v5, s25, -v54
	v_add_f16_e32 v6, v54, v6
	v_mul_f16_e32 v54, 0x3b7b, v30
	v_add_f16_e32 v7, v57, v7
	v_fma_f16 v57, v5, s22, v54
	v_fma_f16 v54, v5, s22, -v54
	v_add_f16_e32 v8, v54, v8
	v_mul_f16_e32 v54, 0x3770, v30
	v_add_f16_e32 v9, v57, v9
	v_fma_f16 v57, v5, s24, v54
	v_fma_f16 v54, v5, s24, -v54
	v_add_f16_e32 v10, v54, v10
	v_mul_f16_e32 v54, 0xba95, v30
	v_add_f16_e32 v13, v57, v13
	v_fma_f16 v57, v5, s21, v54
	v_fma_f16 v54, v5, s21, -v54
	v_mul_f16_e32 v30, 0xb94e, v30
	v_add_f16_e32 v14, v54, v14
	v_fma_f16 v54, v5, s23, v30
	v_fma_f16 v5, v5, s23, -v30
	v_sub_f16_e32 v30, v66, v73
	v_add_f16_e32 v29, v54, v29
	v_add_f16_e32 v2, v5, v2
	v_add_f16_e32 v5, v65, v72
	v_mul_f16_e32 v54, 0xbb7b, v30
	v_add_f16_e32 v15, v57, v15
	v_fma_f16 v57, v5, s22, v54
	v_fma_f16 v54, v5, s22, -v54
	v_add_f16_e32 v4, v54, v4
	v_mul_f16_e32 v54, 0x394e, v30
	v_add_f16_e32 v3, v57, v3
	v_fma_f16 v57, v5, s23, v54
	v_fma_f16 v54, v5, s23, -v54
	v_add_f16_e32 v6, v54, v6
	v_mul_f16_e32 v54, 0x3770, v30
	v_add_f16_e32 v7, v57, v7
	v_fma_f16 v57, v5, s24, v54
	v_fma_f16 v54, v5, s24, -v54
	v_add_f16_e32 v8, v54, v8
	v_mul_f16_e32 v54, 0xbbf1, v30
	v_add_f16_e32 v9, v57, v9
	v_fma_f16 v57, v5, s20, v54
	v_fma_f16 v54, v5, s20, -v54
	v_add_f16_e32 v10, v54, v10
	v_mul_f16_e32 v54, 0x33a8, v30
	v_add_f16_e32 v13, v57, v13
	v_fma_f16 v57, v5, s25, v54
	v_fma_f16 v54, v5, s25, -v54
	v_mul_f16_e32 v30, 0x3a95, v30
	v_add_f16_e32 v14, v54, v14
	v_fma_f16 v54, v5, s21, v30
	v_fma_f16 v5, v5, s21, -v30
	v_sub_f16_e32 v30, v56, v63
	v_add_f16_e32 v29, v54, v29
	v_add_f16_e32 v2, v5, v2
	v_add_f16_e32 v5, v55, v62
	;; [unrolled: 32-line block ×3, first 2 shown]
	v_mul_f16_e32 v54, 0xb3a8, v30
	v_add_f16_e32 v15, v57, v15
	v_fma_f16 v57, v5, s25, v54
	v_fma_f16 v54, v5, s25, -v54
	v_add_f16_e32 v54, v54, v4
	v_mul_f16_e32 v4, 0x3770, v30
	v_add_f16_e32 v3, v57, v3
	v_fma_f16 v57, v5, s24, v4
	v_fma_f16 v4, v5, s24, -v4
	v_add_f16_e32 v6, v4, v6
	;; [unrolled: 5-line block ×5, first 2 shown]
	v_mul_f16_e32 v4, 0x3bf1, v30
	v_fma_f16 v30, v5, s20, v4
	v_fma_f16 v4, v5, s20, -v4
	v_sub_f16_e32 v5, v46, v60
	v_add_f16_e32 v29, v30, v29
	v_add_f16_e32 v2, v4, v2
	;; [unrolled: 1-line block ×3, first 2 shown]
	v_mul_f16_e32 v30, 0xbbf1, v5
	v_sub_f16_e32 v61, v44, v52
	v_add_f16_e32 v15, v57, v15
	v_fma_f16 v57, v4, s20, v30
	v_add_f16_e32 v58, v43, v51
	v_mul_f16_e32 v64, 0xb3a8, v61
	v_fma_f16 v30, v4, s20, -v30
	v_fma_f16 v67, v58, s25, v64
	v_add_f16_e32 v30, v24, v30
	v_fma_f16 v64, v58, s25, -v64
	v_add_f16_e32 v57, v24, v57
	v_add_f16_e32 v30, v64, v30
	v_mul_f16_e32 v64, 0xbb7b, v5
	v_add_f16_e32 v57, v67, v57
	v_fma_f16 v67, v4, s22, v64
	v_mul_f16_e32 v68, 0x394e, v61
	v_fma_f16 v64, v4, s22, -v64
	v_fma_f16 v71, v58, s23, v68
	v_add_f16_e32 v64, v24, v64
	v_fma_f16 v68, v58, s23, -v68
	v_add_f16_e32 v67, v24, v67
	v_add_f16_e32 v64, v68, v64
	v_mul_f16_e32 v68, 0xb94e, v5
	v_add_f16_e32 v67, v71, v67
	v_fma_f16 v71, v4, s23, v68
	;; [unrolled: 10-line block ×3, first 2 shown]
	v_mul_f16_e32 v86, 0x3770, v61
	v_add_f16_e32 v85, v24, v85
	v_fma_f16 v87, v58, s24, v86
	v_fma_f16 v84, v4, s25, -v84
	v_add_f16_e32 v85, v87, v85
	v_add_f16_e32 v84, v24, v84
	v_fma_f16 v86, v58, s24, -v86
	v_sub_f16_e32 v87, v42, v32
	v_add_f16_e32 v84, v86, v84
	v_add_f16_e32 v86, v41, v38
	v_mul_f16_e32 v88, 0x3b7b, v87
	v_fma_f16 v89, v86, s22, v88
	v_fma_f16 v88, v86, s22, -v88
	v_add_f16_e32 v30, v88, v30
	v_mul_f16_e32 v88, 0x3770, v87
	v_add_f16_e32 v57, v89, v57
	v_fma_f16 v89, v86, s24, v88
	v_fma_f16 v88, v86, s24, -v88
	v_add_f16_e32 v64, v88, v64
	v_mul_f16_e32 v88, 0xba95, v87
	v_add_f16_e32 v67, v89, v67
	;; [unrolled: 5-line block ×3, first 2 shown]
	v_fma_f16 v89, v86, s23, v88
	v_add_f16_e32 v85, v89, v85
	v_fma_f16 v88, v86, s23, -v88
	v_sub_f16_e32 v89, v40, v35
	v_add_f16_e32 v84, v88, v84
	v_add_f16_e32 v88, v39, v37
	v_mul_f16_e32 v90, 0x3770, v89
	v_fma_f16 v91, v88, s24, v90
	v_fma_f16 v90, v88, s24, -v90
	v_add_f16_e32 v30, v90, v30
	v_mul_f16_e32 v90, 0xbbf1, v89
	v_add_f16_e32 v57, v91, v57
	v_fma_f16 v91, v88, s20, v90
	v_fma_f16 v90, v88, s20, -v90
	v_add_f16_e32 v64, v90, v64
	v_mul_f16_e32 v90, 0x33a8, v89
	v_add_f16_e32 v67, v91, v67
	v_fma_f16 v91, v88, s25, v90
	v_fma_f16 v90, v88, s25, -v90
	v_add_f16_e32 v68, v90, v68
	v_mul_f16_e32 v90, 0x3a95, v89
	v_add_f16_e32 v71, v91, v71
	v_fma_f16 v91, v88, s21, v90
	v_add_f16_e32 v85, v91, v85
	v_fma_f16 v90, v88, s21, -v90
	v_sub_f16_e32 v91, v36, v34
	v_add_f16_e32 v84, v90, v84
	v_add_f16_e32 v90, v33, v31
	v_mul_f16_e32 v92, 0xba95, v91
	v_fma_f16 v93, v90, s21, v92
	v_fma_f16 v92, v90, s21, -v92
	v_add_f16_e32 v30, v92, v30
	v_mul_f16_e32 v92, 0x33a8, v91
	v_add_f16_e32 v57, v93, v57
	v_fma_f16 v93, v90, s25, v92
	v_fma_f16 v92, v90, s25, -v92
	v_add_f16_e32 v64, v92, v64
	v_mul_f16_e32 v92, 0x3770, v91
	v_add_f16_e32 v67, v93, v67
	v_fma_f16 v93, v90, s24, v92
	v_fma_f16 v92, v90, s24, -v92
	v_add_f16_e32 v68, v92, v68
	v_mul_f16_e32 v92, 0xbb7b, v91
	s_mov_b32 s24, 0xb770ba95
	v_add_f16_e32 v71, v93, v71
	v_fma_f16 v93, v90, s22, v92
	v_fma_f16 v92, v90, s22, -v92
	v_pk_mul_f16 v5, v5, s24 op_sel_hi:[0,1]
	s_mov_b32 s25, 0xba95bb7b
	v_add_f16_e32 v84, v92, v84
	v_pk_fma_f16 v92, v4, s26, v5 op_sel_hi:[0,1,1]
	v_pk_fma_f16 v4, v4, s26, v5 op_sel_hi:[0,1,1] neg_lo:[0,0,1] neg_hi:[0,0,1]
	v_pk_mul_f16 v61, v61, s25 op_sel_hi:[0,1]
	v_add_f16_e32 v85, v93, v85
	v_pk_fma_f16 v93, v58, s27, v61 op_sel_hi:[0,1,1]
	v_pk_fma_f16 v58, v58, s27, v61 op_sel_hi:[0,1,1] neg_lo:[0,0,1] neg_hi:[0,0,1]
	v_pk_add_f16 v4, v24, v4 op_sel_hi:[0,1]
	v_pk_add_f16 v4, v58, v4
	v_pk_mul_f16 v58, v87, s28 op_sel_hi:[0,1]
	v_pk_fma_f16 v61, v86, s30, v58 op_sel_hi:[0,1,1]
	v_pk_fma_f16 v58, v86, s30, v58 op_sel_hi:[0,1,1] neg_lo:[0,0,1] neg_hi:[0,0,1]
	v_add_f16_sdwa v5, v24, v92 dst_sel:DWORD dst_unused:UNUSED_PAD src0_sel:DWORD src1_sel:WORD_1
	v_add_f16_e32 v92, v24, v92
	v_pk_add_f16 v4, v58, v4
	v_pk_mul_f16 v58, v89, s29 op_sel_hi:[0,1]
	v_add_f16_sdwa v5, v93, v5 dst_sel:DWORD dst_unused:UNUSED_PAD src0_sel:WORD_1 src1_sel:DWORD
	v_add_f16_e32 v92, v93, v92
	v_pk_fma_f16 v86, v88, s33, v58 op_sel_hi:[0,1,1]
	v_pk_fma_f16 v58, v88, s33, v58 op_sel_hi:[0,1,1] neg_lo:[0,0,1] neg_hi:[0,0,1]
	v_add_f16_sdwa v5, v61, v5 dst_sel:DWORD dst_unused:UNUSED_PAD src0_sel:WORD_1 src1_sel:DWORD
	v_add_f16_e32 v61, v61, v92
	v_pk_add_f16 v4, v58, v4
	v_pk_mul_f16 v58, v91, s31 op_sel_hi:[0,1]
	v_add_f16_sdwa v5, v86, v5 dst_sel:DWORD dst_unused:UNUSED_PAD src0_sel:WORD_1 src1_sel:DWORD
	v_add_f16_e32 v61, v86, v61
	v_pk_fma_f16 v86, v90, s34, v58 op_sel_hi:[0,1,1]
	v_add_f16_sdwa v5, v86, v5 dst_sel:DWORD dst_unused:UNUSED_PAD src0_sel:WORD_1 src1_sel:DWORD
	v_add_f16_e32 v61, v86, v61
	v_pk_fma_f16 v58, v90, s34, v58 op_sel_hi:[0,1,1] neg_lo:[0,0,1] neg_hi:[0,0,1]
	v_sub_f16_e32 v86, v1, v12
	v_pk_add_f16 v4, v58, v4
	v_add_f16_e32 v58, v0, v11
	v_pk_mul_f16 v87, v86, s35 op_sel_hi:[0,1]
	v_add_f16_e32 v25, v25, v78
	v_pk_fma_f16 v88, v58, s36, v87 op_sel_hi:[0,1,1]
	v_pk_fma_f16 v87, v58, s36, v87 op_sel_hi:[0,1,1] neg_lo:[0,0,1] neg_hi:[0,0,1]
	v_add_f16_e32 v25, v25, v74
	v_pk_add_f16 v4, v87, v4
	v_mul_f16_e32 v87, 0xb94e, v86
	v_add_f16_e32 v25, v25, v69
	v_add_f16_sdwa v5, v88, v5 dst_sel:DWORD dst_unused:UNUSED_PAD src0_sel:WORD_1 src1_sel:DWORD
	v_add_f16_e32 v61, v88, v61
	v_fma_f16 v88, v58, s23, v87
	v_fma_f16 v87, v58, s23, -v87
	v_add_f16_e32 v25, v25, v65
	v_add_f16_e32 v30, v87, v30
	v_mul_f16_e32 v87, 0x3a95, v86
	v_add_f16_e32 v25, v25, v55
	v_add_f16_e32 v57, v88, v57
	v_fma_f16 v88, v58, s21, v87
	v_fma_f16 v87, v58, s21, -v87
	v_add_f16_e32 v25, v25, v49
	v_add_f16_e32 v64, v87, v64
	v_mul_f16_e32 v87, 0xbb7b, v86
	v_add_f16_e32 v25, v25, v50
	v_add_f16_e32 v67, v88, v67
	v_fma_f16 v88, v58, s22, v87
	v_fma_f16 v87, v58, s22, -v87
	v_mul_f16_e32 v86, 0x3bf1, v86
	v_add_f16_e32 v25, v25, v62
	v_add_f16_e32 v68, v87, v68
	v_fma_f16 v87, v58, s20, v86
	v_fma_f16 v58, v58, s20, -v86
	v_add_f16_e32 v25, v25, v72
	v_add_f16_e32 v58, v58, v84
	v_mov_b32_e32 v84, 0x2a4
	v_add_f16_e32 v25, v25, v76
	v_cndmask_b32_e64 v84, 0, v84, s[2:3]
	v_add_f16_e32 v25, v25, v80
	v_add3_u32 v84, 0, v84, v26
	v_add_f16_e32 v25, v25, v82
	ds_read_u16 v86, v22
	s_waitcnt lgkmcnt(0)
	; wave barrier
	s_waitcnt lgkmcnt(0)
	ds_write_b16 v84, v25
	ds_write_b16 v84, v3 offset:52
	ds_write_b16 v84, v7 offset:104
	;; [unrolled: 1-line block ×12, first 2 shown]
	v_mov_b32_e32 v2, 1
	v_lshlrev_b32_sdwa v2, v2, v28 dst_sel:DWORD dst_unused:UNUSED_PAD src0_sel:DWORD src1_sel:BYTE_0
	v_mul_u32_u24_e32 v3, 0x2a4, v27
	v_add_f16_e32 v87, v87, v85
	v_add3_u32 v85, 0, v3, v2
	v_add_f16_e32 v2, v24, v45
	v_add_f16_e32 v2, v2, v43
	;; [unrolled: 1-line block ×13, first 2 shown]
	ds_write_b16 v85, v2
	ds_write_b16 v85, v5 offset:52
	ds_write_b16 v85, v61 offset:104
	;; [unrolled: 1-line block ×11, first 2 shown]
	ds_write_b16_d16_hi v85, v4 offset:624
	s_waitcnt lgkmcnt(0)
	; wave barrier
	s_waitcnt lgkmcnt(0)
	ds_read_u16 v24, v22 offset:1560
	ds_read_u16 v28, v22 offset:1664
	ds_read_u16 v2, v22
	ds_read_u16 v9, v22 offset:104
	ds_read_u16 v15, v22 offset:208
	;; [unrolled: 1-line block ×21, first 2 shown]
                                        ; implicit-def: $vgpr5
                                        ; implicit-def: $vgpr6
	s_and_saveexec_b64 s[2:3], s[0:1]
	s_cbranch_execz .LBB0_13
; %bb.12:
	ds_read_u16 v4, v22 offset:624
	ds_read_u16 v87, v22 offset:1300
	;; [unrolled: 1-line block ×4, first 2 shown]
	s_mov_b32 s20, 0x5040100
	s_waitcnt lgkmcnt(2)
	v_perm_b32 v4, v87, v4, s20
.LBB0_13:
	s_or_b64 exec, exec, s[2:3]
	v_add_f16_e32 v87, v86, v79
	v_add_f16_e32 v87, v87, v75
	;; [unrolled: 1-line block ×12, first 2 shown]
	v_sub_f16_e32 v78, v78, v82
	v_mul_f16_e32 v82, 0x3b15, v79
	v_mul_f16_e32 v88, 0x388b, v79
	;; [unrolled: 1-line block ×6, first 2 shown]
	v_add_f16_e32 v75, v75, v81
	v_add_f16_e32 v87, v87, v83
	v_fma_f16 v83, v78, s16, v82
	v_fma_f16 v82, v78, s17, v82
	;; [unrolled: 1-line block ×12, first 2 shown]
	v_sub_f16_e32 v74, v74, v80
	v_mul_f16_e32 v79, 0x388b, v75
	v_add_f16_e32 v83, v86, v83
	v_add_f16_e32 v82, v86, v82
	v_fma_f16 v80, v74, s6, v79
	v_fma_f16 v79, v74, s7, v79
	v_mul_f16_e32 v81, 0xb5ac, v75
	v_add_f16_e32 v88, v86, v88
	v_add_f16_e32 v80, v80, v83
	;; [unrolled: 1-line block ×3, first 2 shown]
	v_fma_f16 v82, v74, s11, v81
	v_fma_f16 v81, v74, s10, v81
	v_mul_f16_e32 v83, 0xbbc4, v75
	v_add_f16_e32 v89, v86, v89
	v_add_f16_e32 v91, v86, v91
	;; [unrolled: 1-line block ×10, first 2 shown]
	v_fma_f16 v86, v74, s19, v83
	v_fma_f16 v83, v74, s18, v83
	v_mul_f16_e32 v88, 0xb9fd, v75
	v_add_f16_e32 v82, v82, v89
	v_add_f16_e32 v83, v83, v90
	v_fma_f16 v89, v74, s14, v88
	v_fma_f16 v88, v74, s15, v88
	v_mul_f16_e32 v90, 0x2fb7, v75
	v_mul_f16_e32 v75, 0x3b15, v75
	v_add_f16_e32 v70, v70, v77
	v_add_f16_e32 v86, v86, v91
	;; [unrolled: 1-line block ×3, first 2 shown]
	v_fma_f16 v91, v74, s5, v90
	v_fma_f16 v90, v74, s4, v90
	;; [unrolled: 1-line block ×4, first 2 shown]
	v_sub_f16_e32 v69, v69, v76
	v_mul_f16_e32 v75, 0x2fb7, v70
	v_fma_f16 v76, v69, s4, v75
	v_fma_f16 v75, v69, s5, v75
	v_mul_f16_e32 v77, 0xbbc4, v70
	v_add_f16_e32 v74, v74, v78
	v_add_f16_e32 v75, v75, v79
	v_fma_f16 v78, v69, s19, v77
	v_fma_f16 v77, v69, s18, v77
	v_mul_f16_e32 v79, 0xb5ac, v70
	v_add_f16_e32 v76, v76, v80
	v_add_f16_e32 v77, v77, v81
	;; [unrolled: 5-line block ×3, first 2 shown]
	v_fma_f16 v82, v69, s17, v81
	v_fma_f16 v81, v69, s16, v81
	v_mul_f16_e32 v83, 0x388b, v70
	v_mul_f16_e32 v70, 0xb9fd, v70
	v_add_f16_e32 v66, v66, v73
	v_add_f16_e32 v80, v80, v86
	;; [unrolled: 1-line block ×3, first 2 shown]
	v_fma_f16 v86, v69, s6, v83
	v_fma_f16 v83, v69, s7, v83
	;; [unrolled: 1-line block ×4, first 2 shown]
	v_sub_f16_e32 v65, v65, v72
	v_mul_f16_e32 v70, 0xb5ac, v66
	v_fma_f16 v72, v65, s11, v70
	v_fma_f16 v70, v65, s10, v70
	v_mul_f16_e32 v73, 0xb9fd, v66
	v_add_f16_e32 v69, v69, v74
	v_add_f16_e32 v70, v70, v75
	v_fma_f16 v74, v65, s14, v73
	v_fma_f16 v73, v65, s15, v73
	v_mul_f16_e32 v75, 0x3b15, v66
	v_add_f16_e32 v72, v72, v76
	v_add_f16_e32 v73, v73, v77
	;; [unrolled: 5-line block ×3, first 2 shown]
	v_add_f16_e32 v75, v75, v79
	v_fma_f16 v78, v65, s4, v77
	v_fma_f16 v77, v65, s5, v77
	v_mul_f16_e32 v79, 0xbbc4, v66
	v_mul_f16_e32 v66, 0x388b, v66
	v_sub_f16_e32 v55, v55, v62
	v_mul_f16_e32 v62, 0xb9fd, v56
	v_add_f16_e32 v76, v76, v80
	v_add_f16_e32 v77, v77, v81
	v_fma_f16 v80, v65, s18, v79
	v_fma_f16 v79, v65, s19, v79
	;; [unrolled: 1-line block ×6, first 2 shown]
	v_mul_f16_e32 v66, 0x2fb7, v56
	v_add_f16_e32 v65, v65, v69
	v_add_f16_e32 v62, v62, v70
	v_fma_f16 v69, v55, s5, v66
	v_fma_f16 v66, v55, s4, v66
	v_mul_f16_e32 v70, 0x388b, v56
	v_add_f16_e32 v63, v63, v72
	v_add_f16_e32 v66, v66, v73
	v_fma_f16 v72, v55, s6, v70
	v_fma_f16 v70, v55, s7, v70
	v_mul_f16_e32 v73, 0xbbc4, v56
	v_add_f16_e32 v47, v48, v47
	v_add_f16_e32 v69, v69, v74
	v_add_f16_e32 v70, v70, v75
	v_fma_f16 v74, v55, s18, v73
	v_fma_f16 v73, v55, s19, v73
	v_mul_f16_e32 v75, 0x3b15, v56
	v_mul_f16_e32 v56, 0xb5ac, v56
	v_sub_f16_e32 v48, v49, v50
	v_mul_f16_e32 v49, 0xbbc4, v47
	v_add_f16_e32 v72, v72, v76
	v_add_f16_e32 v73, v73, v77
	v_fma_f16 v76, v55, s17, v75
	v_fma_f16 v75, v55, s16, v75
	;; [unrolled: 1-line block ×6, first 2 shown]
	v_mul_f16_e32 v56, 0x3b15, v47
	v_add_f16_e32 v50, v50, v63
	v_add_f16_e32 v49, v49, v62
	v_fma_f16 v62, v48, s17, v56
	v_fma_f16 v56, v48, s16, v56
	v_mul_f16_e32 v63, 0xb9fd, v47
	v_add_f16_e32 v55, v55, v65
	v_add_f16_e32 v56, v56, v66
	v_fma_f16 v65, v48, s15, v63
	v_fma_f16 v63, v48, s14, v63
	;; [unrolled: 5-line block ×3, first 2 shown]
	v_mul_f16_e32 v70, 0xb5ac, v47
	v_mul_f16_e32 v47, 0x2fb7, v47
	v_add_f16_e32 v65, v65, v72
	v_add_f16_e32 v66, v66, v73
	v_fma_f16 v72, v48, s11, v70
	v_fma_f16 v70, v48, s10, v70
	;; [unrolled: 1-line block ×4, first 2 shown]
	v_add_f16_e32 v48, v53, v46
	v_add_f16_e32 v48, v48, v44
	;; [unrolled: 1-line block ×15, first 2 shown]
	v_sub_f16_e32 v45, v45, v59
	v_mul_f16_e32 v55, 0x2fb7, v46
	v_add_f16_e32 v44, v44, v52
	v_add_f16_e32 v91, v91, v95
	;; [unrolled: 1-line block ×5, first 2 shown]
	v_fma_f16 v59, v45, s4, v55
	v_fma_f16 v55, v45, s5, v55
	v_sub_f16_e32 v43, v43, v51
	v_mul_f16_e32 v51, 0xbbc4, v44
	v_add_f16_e32 v32, v42, v32
	v_add_f16_e32 v86, v86, v91
	;; [unrolled: 1-line block ×6, first 2 shown]
	v_mul_f16_e32 v60, 0xb5ac, v46
	v_fma_f16 v52, v43, s19, v51
	v_fma_f16 v51, v43, s18, v51
	v_sub_f16_e32 v38, v41, v38
	v_mul_f16_e32 v41, 0xb5ac, v32
	v_add_f16_e32 v92, v92, v96
	v_add_f16_e32 v80, v80, v86
	;; [unrolled: 1-line block ×5, first 2 shown]
	v_fma_f16 v74, v45, s11, v60
	v_fma_f16 v60, v45, s10, v60
	v_add_f16_e32 v51, v51, v55
	v_mul_f16_e32 v55, 0xb9fd, v44
	v_fma_f16 v42, v38, s10, v41
	v_fma_f16 v41, v38, s11, v41
	v_add_f16_e32 v88, v88, v92
	v_add_f16_e32 v76, v76, v80
	;; [unrolled: 1-line block ×4, first 2 shown]
	v_mul_f16_e32 v75, 0xb9fd, v46
	v_add_f16_e32 v52, v52, v59
	v_fma_f16 v59, v43, s14, v55
	v_fma_f16 v55, v43, s15, v55
	v_add_f16_e32 v41, v41, v51
	v_mul_f16_e32 v51, 0x3b15, v32
	v_add_f16_e32 v35, v40, v35
	v_add_f16_e32 v81, v81, v88
	;; [unrolled: 1-line block ×4, first 2 shown]
	v_fma_f16 v76, v45, s15, v75
	v_fma_f16 v75, v45, s14, v75
	v_add_f16_e32 v55, v55, v60
	v_mul_f16_e32 v60, 0x2fb7, v44
	v_add_f16_e32 v42, v42, v52
	v_fma_f16 v52, v38, s17, v51
	v_fma_f16 v51, v38, s16, v51
	v_sub_f16_e32 v37, v39, v37
	v_mul_f16_e32 v39, 0x3b15, v35
	v_add_f16_e32 v34, v36, v34
	v_add_f16_e32 v77, v77, v81
	;; [unrolled: 1-line block ×4, first 2 shown]
	v_fma_f16 v74, v43, s5, v60
	v_fma_f16 v60, v43, s4, v60
	v_add_f16_e32 v51, v51, v55
	v_mul_f16_e32 v55, 0x388b, v32
	v_fma_f16 v40, v37, s17, v39
	v_fma_f16 v39, v37, s16, v39
	v_sub_f16_e32 v31, v33, v31
	v_mul_f16_e32 v33, 0x388b, v34
	v_sub_f16_e32 v0, v0, v11
	v_pk_mul_f16 v11, v46, s26 op_sel_hi:[0,1]
	v_add_f16_e32 v73, v73, v77
	v_add_f16_e32 v76, v53, v76
	v_mul_f16_e32 v77, 0xbbc4, v46
	v_add_f16_e32 v60, v60, v75
	v_mul_f16_e32 v75, 0x3b15, v44
	v_add_f16_e32 v52, v52, v59
	v_fma_f16 v59, v38, s6, v55
	v_fma_f16 v55, v38, s7, v55
	v_add_f16_e32 v39, v39, v41
	v_mul_f16_e32 v41, 0x2fb7, v35
	v_fma_f16 v36, v31, s6, v33
	v_fma_f16 v33, v31, s7, v33
	v_add_f16_e32 v1, v1, v12
	v_pk_fma_f16 v12, v45, s24, v11 op_sel_hi:[0,1,1] neg_lo:[1,0,0] neg_hi:[1,0,0]
	v_pk_fma_f16 v11, v45, s24, v11 op_sel_hi:[0,1,1]
	v_pk_mul_f16 v44, v44, s27 op_sel_hi:[0,1]
	v_fma_f16 v78, v45, s19, v77
	v_fma_f16 v77, v45, s18, v77
	v_add_f16_e32 v74, v74, v76
	v_fma_f16 v76, v43, s17, v75
	v_fma_f16 v75, v43, s16, v75
	v_add_f16_e32 v55, v55, v60
	v_mul_f16_e32 v60, 0xb9fd, v32
	v_add_f16_e32 v40, v40, v42
	v_fma_f16 v42, v37, s4, v41
	v_fma_f16 v41, v37, s5, v41
	v_add_f16_e32 v33, v33, v39
	v_mul_f16_e32 v39, 0xbbc4, v34
	v_pk_add_f16 v11, v53, v11 op_sel_hi:[0,1]
	v_pk_fma_f16 v45, v43, s25, v44 op_sel_hi:[0,1,1] neg_lo:[1,0,0] neg_hi:[1,0,0]
	v_pk_fma_f16 v43, v43, s25, v44 op_sel_hi:[0,1,1]
	v_pk_mul_f16 v32, v32, s30 op_sel_hi:[0,1]
	v_add_f16_e32 v41, v41, v51
	v_mul_f16_e32 v51, 0xbbc4, v35
	v_add_f16_e32 v36, v36, v40
	v_fma_f16 v40, v31, s18, v39
	v_fma_f16 v39, v31, s19, v39
	v_pk_add_f16 v11, v43, v11
	v_pk_fma_f16 v43, v38, s28, v32 op_sel_hi:[0,1,1] neg_lo:[1,0,0] neg_hi:[1,0,0]
	v_pk_fma_f16 v32, v38, s28, v32 op_sel_hi:[0,1,1]
	v_add_f16_e32 v42, v42, v52
	v_fma_f16 v52, v37, s18, v51
	v_fma_f16 v51, v37, s19, v51
	v_add_f16_e32 v39, v39, v41
	v_mul_f16_e32 v41, 0x3b15, v34
	v_pk_add_f16 v11, v32, v11
	v_pk_mul_f16 v32, v35, s33 op_sel_hi:[0,1]
	v_add_f16_e32 v59, v59, v74
	v_add_f16_e32 v51, v51, v55
	v_mul_f16_e32 v55, 0x388b, v35
	v_add_f16_e32 v40, v40, v42
	v_fma_f16 v42, v31, s17, v41
	v_fma_f16 v41, v31, s16, v41
	v_pk_fma_f16 v35, v37, s29, v32 op_sel_hi:[0,1,1] neg_lo:[1,0,0] neg_hi:[1,0,0]
	v_pk_fma_f16 v32, v37, s29, v32 op_sel_hi:[0,1,1]
	v_add_f16_e32 v52, v52, v59
	v_add_f16_e32 v41, v41, v51
	v_mul_f16_e32 v51, 0xb5ac, v34
	v_add_f16_sdwa v46, v53, v12 dst_sel:DWORD dst_unused:UNUSED_PAD src0_sel:DWORD src1_sel:WORD_1
	v_add_f16_e32 v12, v53, v12
	v_pk_add_f16 v11, v32, v11
	v_pk_mul_f16 v32, v34, s34 op_sel_hi:[0,1]
	v_add_f16_e32 v42, v42, v52
	v_fma_f16 v52, v31, s11, v51
	v_fma_f16 v51, v31, s10, v51
	v_add_f16_sdwa v46, v45, v46 dst_sel:DWORD dst_unused:UNUSED_PAD src0_sel:WORD_1 src1_sel:DWORD
	v_add_f16_e32 v12, v45, v12
	v_pk_fma_f16 v34, v31, s31, v32 op_sel_hi:[0,1,1] neg_lo:[1,0,0] neg_hi:[1,0,0]
	v_pk_fma_f16 v31, v31, s31, v32 op_sel_hi:[0,1,1]
	v_add_f16_sdwa v44, v43, v46 dst_sel:DWORD dst_unused:UNUSED_PAD src0_sel:WORD_1 src1_sel:DWORD
	v_add_f16_e32 v12, v43, v12
	v_pk_add_f16 v11, v31, v11
	v_pk_mul_f16 v31, v1, s36 op_sel_hi:[0,1]
	v_add_f16_e32 v78, v53, v78
	v_add_f16_e32 v77, v53, v77
	v_fma_f16 v74, v38, s15, v60
	v_fma_f16 v60, v38, s14, v60
	v_add_f16_sdwa v38, v35, v44 dst_sel:DWORD dst_unused:UNUSED_PAD src0_sel:WORD_1 src1_sel:DWORD
	v_add_f16_e32 v12, v35, v12
	v_pk_fma_f16 v32, v0, s35, v31 op_sel_hi:[0,1,1] neg_lo:[1,0,0] neg_hi:[1,0,0]
	v_pk_fma_f16 v31, v0, s35, v31 op_sel_hi:[0,1,1]
	v_add_f16_e32 v76, v76, v78
	v_add_f16_e32 v75, v75, v77
	v_add_f16_sdwa v35, v34, v38 dst_sel:DWORD dst_unused:UNUSED_PAD src0_sel:WORD_1 src1_sel:DWORD
	v_add_f16_e32 v12, v34, v12
	v_pk_add_f16 v11, v31, v11
	v_mul_f16_e32 v31, 0xb9fd, v1
	v_add_f16_e32 v74, v74, v76
	v_add_f16_e32 v60, v60, v75
	v_fma_f16 v59, v37, s7, v55
	v_fma_f16 v55, v37, s6, v55
	v_add_f16_sdwa v34, v32, v35 dst_sel:DWORD dst_unused:UNUSED_PAD src0_sel:WORD_1 src1_sel:DWORD
	v_add_f16_e32 v12, v32, v12
	v_fma_f16 v32, v0, s15, v31
	v_fma_f16 v31, v0, s14, v31
	v_add_f16_e32 v59, v59, v74
	v_add_f16_e32 v55, v55, v60
	;; [unrolled: 1-line block ×4, first 2 shown]
	v_mul_f16_e32 v33, 0x388b, v1
	v_mul_f16_e32 v36, 0xb5ac, v1
	;; [unrolled: 1-line block ×3, first 2 shown]
	v_add_f16_e32 v52, v52, v59
	v_add_f16_e32 v51, v51, v55
	v_fma_f16 v35, v0, s7, v33
	v_fma_f16 v33, v0, s6, v33
	;; [unrolled: 1-line block ×6, first 2 shown]
	v_add_f16_e32 v35, v35, v40
	v_add_f16_e32 v33, v33, v39
	;; [unrolled: 1-line block ×6, first 2 shown]
	s_waitcnt lgkmcnt(0)
	; wave barrier
	s_waitcnt lgkmcnt(0)
	ds_write_b16 v84, v87
	ds_write_b16 v84, v50 offset:52
	ds_write_b16 v84, v62 offset:104
	;; [unrolled: 1-line block ×12, first 2 shown]
	ds_write_b16 v85, v48
	ds_write_b16 v85, v34 offset:52
	ds_write_b16 v85, v12 offset:104
	;; [unrolled: 1-line block ×11, first 2 shown]
	v_lshrrev_b32_e32 v12, 16, v11
	ds_write_b16 v85, v12 offset:624
	s_waitcnt lgkmcnt(0)
	; wave barrier
	s_waitcnt lgkmcnt(0)
	ds_read_u16 v37, v22 offset:780
	ds_read_u16 v39, v22 offset:1456
	;; [unrolled: 1-line block ×4, first 2 shown]
	ds_read_u16 v33, v22
	ds_read_u16 v38, v22 offset:104
	ds_read_u16 v41, v22 offset:208
	;; [unrolled: 1-line block ×19, first 2 shown]
                                        ; implicit-def: $vgpr31
                                        ; implicit-def: $vgpr32
	s_and_saveexec_b64 s[2:3], s[0:1]
	s_cbranch_execz .LBB0_15
; %bb.14:
	ds_read_u16 v11, v22 offset:624
	ds_read_u16 v12, v22 offset:1300
	;; [unrolled: 1-line block ×4, first 2 shown]
	v_mov_b32_e32 v23, v17
.LBB0_15:
	s_or_b64 exec, exec, s[2:3]
	s_and_saveexec_b64 s[2:3], vcc
	s_cbranch_execz .LBB0_18
; %bb.16:
	v_mul_u32_u24_e32 v0, 3, v20
	v_lshlrev_b32_e32 v0, 2, v0
	global_load_dwordx3 v[72:74], v0, s[8:9] offset:1344
	v_mov_b32_e32 v0, 0xffffff64
	v_mov_b32_e32 v1, 0
	v_mad_u32_u24 v0, v20, 3, v0
	v_lshlrev_b64 v[62:63], 2, v[0:1]
	v_mov_b32_e32 v17, s9
	v_add_co_u32_e32 v62, vcc, s8, v62
	v_mov_b32_e32 v0, 0xfffffec8
	v_addc_co_u32_e32 v63, vcc, v17, v63, vcc
	v_mad_u32_u24 v0, v20, 3, v0
	global_load_dwordx3 v[75:77], v[62:63], off offset:1344
	v_lshlrev_b64 v[62:63], 2, v[0:1]
	v_mov_b32_e32 v0, 0xfffffe2c
	v_add_co_u32_e32 v62, vcc, s8, v62
	v_addc_co_u32_e32 v63, vcc, v17, v63, vcc
	global_load_dwordx3 v[78:80], v[62:63], off offset:1344
	v_mad_u32_u24 v0, v20, 3, v0
	v_lshlrev_b64 v[62:63], 2, v[0:1]
	v_mov_b32_e32 v22, 0xfffffd90
	v_add_co_u32_e32 v62, vcc, s8, v62
	v_mad_u32_u24 v0, v20, 3, v22
	v_addc_co_u32_e32 v63, vcc, v17, v63, vcc
	v_lshlrev_b64 v[65:66], 2, v[0:1]
	global_load_dwordx3 v[81:83], v[62:63], off offset:1344
	v_add_co_u32_e32 v62, vcc, s8, v65
	v_addc_co_u32_e32 v63, vcc, v17, v66, vcc
	v_add_co_u32_e32 v18, vcc, s12, v18
	s_movk_i32 s2, 0x1000
	s_movk_i32 s3, 0x340
	s_waitcnt vmcnt(3) lgkmcnt(0)
	v_mul_f16_sdwa v0, v59, v73 dst_sel:DWORD dst_unused:UNUSED_PAD src0_sel:DWORD src1_sel:WORD_1
	v_mul_f16_sdwa v17, v67, v72 dst_sel:DWORD dst_unused:UNUSED_PAD src0_sel:DWORD src1_sel:WORD_1
	;; [unrolled: 1-line block ×6, first 2 shown]
	v_fma_f16 v0, v71, v73, v0
	v_fma_f16 v17, v55, v72, -v17
	v_fma_f16 v22, v56, v74, -v22
	;; [unrolled: 1-line block ×3, first 2 shown]
	v_fma_f16 v56, v67, v72, v65
	v_fma_f16 v59, v68, v74, v66
	v_sub_f16_e32 v0, v64, v0
	v_sub_f16_e32 v22, v17, v22
	;; [unrolled: 1-line block ×4, first 2 shown]
	v_add_f16_e32 v60, v0, v22
	v_sub_f16_e32 v65, v55, v59
	v_fma_f16 v53, v53, 2.0, -v55
	v_fma_f16 v17, v17, 2.0, -v22
	s_waitcnt vmcnt(2)
	v_mul_f16_sdwa v22, v50, v76 dst_sel:DWORD dst_unused:UNUSED_PAD src0_sel:DWORD src1_sel:WORD_1
	v_mul_f16_sdwa v67, v58, v76 dst_sel:DWORD dst_unused:UNUSED_PAD src0_sel:DWORD src1_sel:WORD_1
	;; [unrolled: 1-line block ×4, first 2 shown]
	v_fma_f16 v64, v64, 2.0, -v0
	v_fma_f16 v56, v56, 2.0, -v59
	v_mul_f16_sdwa v59, v57, v75 dst_sel:DWORD dst_unused:UNUSED_PAD src0_sel:DWORD src1_sel:WORD_1
	v_mul_f16_sdwa v66, v61, v77 dst_sel:DWORD dst_unused:UNUSED_PAD src0_sel:DWORD src1_sel:WORD_1
	v_fma_f16 v70, v0, 2.0, -v60
	v_fma_f16 v71, v55, 2.0, -v65
	v_sub_f16_e32 v72, v53, v17
	v_fma_f16 v0, v58, v76, v22
	v_fma_f16 v55, v50, v76, -v67
	v_fma_f16 v57, v57, v75, v68
	v_fma_f16 v58, v61, v77, v69
	v_fma_f16 v17, v51, v75, -v59
	v_fma_f16 v22, v52, v77, -v66
	global_load_dwordx3 v[50:52], v[62:63], off offset:1344
	v_fma_f16 v61, v53, 2.0, -v72
	v_sub_f16_e32 v53, v49, v55
	v_sub_f16_e32 v55, v57, v58
	;; [unrolled: 1-line block ×3, first 2 shown]
	v_fma_f16 v55, v57, 2.0, -v55
	v_fma_f16 v49, v49, 2.0, -v53
	v_fma_f16 v57, v53, 2.0, -v62
	s_waitcnt vmcnt(2)
	v_mul_f16_sdwa v53, v29, v78 dst_sel:DWORD dst_unused:UNUSED_PAD src0_sel:DWORD src1_sel:WORD_1
	v_sub_f16_e32 v0, v54, v0
	v_fma_f16 v67, v47, v78, -v53
	v_mul_f16_sdwa v53, v30, v80 dst_sel:DWORD dst_unused:UNUSED_PAD src0_sel:DWORD src1_sel:WORD_1
	v_fma_f16 v54, v54, 2.0, -v0
	v_fma_f16 v68, v48, v80, -v53
	v_mul_u32_u24_e32 v53, 3, v16
	v_sub_f16_e32 v63, v54, v55
	v_lshlrev_b32_e32 v53, 2, v53
	v_fma_f16 v66, v54, 2.0, -v63
	global_load_dwordx3 v[53:55], v53, s[8:9] offset:1344
	v_sub_f16_e32 v22, v17, v22
	v_sub_f16_e32 v56, v64, v56
	v_add_f16_e32 v58, v0, v22
	v_fma_f16 v17, v17, 2.0, -v22
	v_fma_f16 v59, v64, 2.0, -v56
	;; [unrolled: 1-line block ×3, first 2 shown]
	v_sub_f16_e32 v64, v49, v17
	v_lshrrev_b32_e32 v0, 16, v79
	v_mul_f16_e32 v17, v28, v79
	v_fma_f16 v17, v46, v0, v17
	v_mul_f16_e32 v0, v28, v0
	v_mul_f16_sdwa v28, v47, v78 dst_sel:DWORD dst_unused:UNUSED_PAD src0_sel:DWORD src1_sel:WORD_1
	v_fma_f16 v28, v29, v78, v28
	v_mul_f16_sdwa v29, v48, v80 dst_sel:DWORD dst_unused:UNUSED_PAD src0_sel:DWORD src1_sel:WORD_1
	v_sub_f16_e32 v17, v27, v17
	v_sub_f16_e32 v68, v67, v68
	v_fma_f16 v29, v30, v80, v29
	v_add_f16_e32 v69, v17, v68
	v_fma_f16 v0, v46, v79, -v0
	v_sub_f16_e32 v29, v28, v29
	v_fma_f16 v73, v17, 2.0, -v69
	v_sub_f16_e32 v0, v45, v0
	v_fma_f16 v17, v27, 2.0, -v17
	v_fma_f16 v27, v28, 2.0, -v29
	v_sub_f16_e32 v30, v0, v29
	v_sub_f16_e32 v27, v17, v27
	v_fma_f16 v46, v0, 2.0, -v30
	v_fma_f16 v0, v45, 2.0, -v0
	;; [unrolled: 1-line block ×3, first 2 shown]
	s_waitcnt vmcnt(2)
	v_lshrrev_b32_e32 v17, 16, v82
	v_mul_f16_e32 v45, v24, v82
	v_fma_f16 v45, v42, v17, v45
	v_mul_f16_e32 v17, v24, v17
	v_mul_f16_sdwa v24, v43, v81 dst_sel:DWORD dst_unused:UNUSED_PAD src0_sel:DWORD src1_sel:WORD_1
	v_mul_f16_sdwa v47, v25, v81 dst_sel:DWORD dst_unused:UNUSED_PAD src0_sel:DWORD src1_sel:WORD_1
	v_fma_f16 v24, v25, v81, v24
	v_mul_f16_sdwa v25, v44, v83 dst_sel:DWORD dst_unused:UNUSED_PAD src0_sel:DWORD src1_sel:WORD_1
	v_mul_f16_sdwa v48, v26, v83 dst_sel:DWORD dst_unused:UNUSED_PAD src0_sel:DWORD src1_sel:WORD_1
	v_fma_f16 v17, v42, v82, -v17
	v_fma_f16 v25, v26, v83, v25
	v_fma_f16 v47, v43, v81, -v47
	v_fma_f16 v48, v44, v83, -v48
	v_sub_f16_e32 v17, v41, v17
	v_sub_f16_e32 v25, v24, v25
	;; [unrolled: 1-line block ×4, first 2 shown]
	v_fma_f16 v42, v17, 2.0, -v26
	v_fma_f16 v24, v24, 2.0, -v25
	;; [unrolled: 1-line block ×4, first 2 shown]
	v_sub_f16_e32 v25, v17, v25
	v_fma_f16 v41, v17, 2.0, -v25
	v_sub_f16_e32 v45, v15, v45
	v_fma_f16 v28, v67, 2.0, -v68
	v_add_f16_e32 v67, v45, v48
	v_fma_f16 v68, v45, 2.0, -v67
	v_fma_f16 v15, v15, 2.0, -v45
	v_sub_f16_e32 v24, v15, v24
	v_fma_f16 v15, v15, 2.0, -v24
	v_sub_f16_e32 v28, v0, v28
	v_fma_f16 v0, v0, 2.0, -v28
	s_waitcnt vmcnt(1)
	v_lshrrev_b32_e32 v17, 16, v51
	v_mul_f16_e32 v43, v13, v51
	v_fma_f16 v43, v39, v17, v43
	v_mul_f16_e32 v13, v13, v17
	v_mul_f16_sdwa v17, v37, v50 dst_sel:DWORD dst_unused:UNUSED_PAD src0_sel:DWORD src1_sel:WORD_1
	v_mul_f16_sdwa v44, v10, v50 dst_sel:DWORD dst_unused:UNUSED_PAD src0_sel:DWORD src1_sel:WORD_1
	v_fma_f16 v10, v10, v50, v17
	v_mul_f16_sdwa v17, v40, v52 dst_sel:DWORD dst_unused:UNUSED_PAD src0_sel:DWORD src1_sel:WORD_1
	v_mul_f16_sdwa v45, v14, v52 dst_sel:DWORD dst_unused:UNUSED_PAD src0_sel:DWORD src1_sel:WORD_1
	v_fma_f16 v13, v39, v51, -v13
	v_fma_f16 v14, v14, v52, v17
	v_sub_f16_e32 v13, v38, v13
	v_sub_f16_e32 v14, v10, v14
	v_fma_f16 v44, v37, v50, -v44
	v_sub_f16_e32 v37, v13, v14
	v_fma_f16 v45, v40, v52, -v45
	v_fma_f16 v39, v13, 2.0, -v37
	v_fma_f16 v13, v38, 2.0, -v13
	s_waitcnt vmcnt(0)
	v_lshrrev_b32_e32 v17, 16, v54
	v_mul_f16_e32 v38, v7, v54
	v_sub_f16_e32 v43, v9, v43
	v_sub_f16_e32 v45, v44, v45
	v_fma_f16 v38, v35, v17, v38
	v_mul_f16_e32 v7, v7, v17
	v_mul_f16_sdwa v17, v34, v53 dst_sel:DWORD dst_unused:UNUSED_PAD src0_sel:DWORD src1_sel:WORD_1
	v_add_f16_e32 v47, v43, v45
	v_mul_f16_sdwa v40, v3, v53 dst_sel:DWORD dst_unused:UNUSED_PAD src0_sel:DWORD src1_sel:WORD_1
	v_fma_f16 v3, v3, v53, v17
	v_mul_f16_sdwa v17, v36, v55 dst_sel:DWORD dst_unused:UNUSED_PAD src0_sel:DWORD src1_sel:WORD_1
	v_fma_f16 v48, v43, 2.0, -v47
	v_fma_f16 v9, v9, 2.0, -v43
	v_mul_f16_sdwa v43, v8, v55 dst_sel:DWORD dst_unused:UNUSED_PAD src0_sel:DWORD src1_sel:WORD_1
	v_fma_f16 v7, v35, v54, -v7
	v_fma_f16 v8, v8, v55, v17
	v_sub_f16_e32 v38, v2, v38
	v_fma_f16 v40, v34, v53, -v40
	v_fma_f16 v43, v36, v55, -v43
	v_sub_f16_e32 v7, v33, v7
	v_sub_f16_e32 v8, v3, v8
	;; [unrolled: 1-line block ×4, first 2 shown]
	v_fma_f16 v2, v2, 2.0, -v38
	v_fma_f16 v3, v3, 2.0, -v8
	;; [unrolled: 1-line block ×3, first 2 shown]
	v_sub_f16_e32 v8, v2, v3
	v_fma_f16 v3, v33, 2.0, -v7
	v_fma_f16 v7, v40, 2.0, -v43
	v_sub_f16_e32 v7, v3, v7
	v_fma_f16 v33, v2, 2.0, -v8
	v_mov_b32_e32 v17, v1
	v_mov_b32_e32 v2, s13
	v_fma_f16 v36, v3, 2.0, -v7
	v_addc_co_u32_e32 v19, vcc, v2, v19, vcc
	v_lshlrev_b64 v[2:3], 2, v[16:17]
	v_fma_f16 v10, v10, 2.0, -v14
	v_fma_f16 v14, v44, 2.0, -v45
	v_add_co_u32_e32 v2, vcc, v18, v2
	v_sub_f16_e32 v10, v9, v10
	v_sub_f16_e32 v14, v13, v14
	v_add_f16_e32 v44, v38, v43
	v_addc_co_u32_e32 v3, vcc, v19, v3, vcc
	v_pack_b32_f16 v7, v8, v7
	v_fma_f16 v9, v9, 2.0, -v10
	v_fma_f16 v13, v13, 2.0, -v14
	global_store_dword v[2:3], v7, off offset:2704
	v_pack_b32_f16 v7, v44, v34
	global_store_dword v[2:3], v7, off offset:4056
	v_pack_b32_f16 v7, v9, v13
	;; [unrolled: 2-line block ×4, first 2 shown]
	global_store_dword v[2:3], v7, off offset:2912
	v_add_co_u32_e32 v7, vcc, s2, v2
	v_pack_b32_f16 v9, v47, v37
	v_addc_co_u32_e32 v8, vcc, 0, v3, vcc
	global_store_dword v[7:8], v9, off offset:168
	v_pack_b32_f16 v9, v15, v41
	global_store_dword v[2:3], v9, off offset:416
	v_pack_b32_f16 v9, v68, v42
	;; [unrolled: 2-line block ×4, first 2 shown]
	s_mov_b32 s2, 0x60f25deb
	global_store_dword v[7:8], v9, off offset:376
	v_pack_b32_f16 v0, v29, v0
	v_mul_hi_u32 v9, v21, s2
	global_store_dword v[2:3], v0, off offset:624
	v_pack_b32_f16 v0, v73, v46
	global_store_dword v[2:3], v0, off offset:1976
	v_pack_b32_f16 v0, v27, v28
	;; [unrolled: 2-line block ×3, first 2 shown]
	global_store_dword v[7:8], v0, off offset:584
	v_lshrrev_b32_e32 v0, 7, v9
	v_mul_u32_u24_e32 v0, 0x3f6, v0
	v_lshlrev_b64 v[7:8], 2, v[0:1]
	v_fma_f16 v49, v49, 2.0, -v64
	v_fma_f16 v45, v38, 2.0, -v44
	v_pack_b32_f16 v16, v33, v36
	v_add_co_u32_e32 v7, vcc, v2, v7
	global_store_dword v[2:3], v16, off
	v_pack_b32_f16 v16, v45, v35
	v_addc_co_u32_e32 v8, vcc, v3, v8, vcc
	v_pack_b32_f16 v0, v66, v49
	v_mul_hi_u32 v13, v20, s2
	global_store_dword v[2:3], v16, off offset:1352
	global_store_dword v[7:8], v0, off offset:832
	v_pack_b32_f16 v0, v22, v57
	v_add_co_u32_e32 v9, vcc, s3, v7
	global_store_dword v[7:8], v0, off offset:2184
	v_pack_b32_f16 v0, v63, v64
	v_addc_co_u32_e32 v10, vcc, 0, v8, vcc
	global_store_dword v[7:8], v0, off offset:3536
	v_pack_b32_f16 v0, v58, v62
	global_store_dword v[9:10], v0, off offset:4056
	v_lshrrev_b32_e32 v0, 7, v13
	v_mul_u32_u24_e32 v0, 0x3f6, v0
	v_lshlrev_b64 v[7:8], 2, v[0:1]
	v_pack_b32_f16 v0, v59, v61
	v_add_co_u32_e32 v7, vcc, v2, v7
	v_addc_co_u32_e32 v8, vcc, v3, v8, vcc
	global_store_dword v[7:8], v0, off offset:1040
	v_pack_b32_f16 v0, v70, v71
	v_add_co_u32_e32 v9, vcc, 0x410, v7
	global_store_dword v[7:8], v0, off offset:2392
	v_pack_b32_f16 v0, v56, v72
	v_addc_co_u32_e32 v10, vcc, 0, v8, vcc
	global_store_dword v[7:8], v0, off offset:3744
	v_pack_b32_f16 v0, v60, v65
	global_store_dword v[9:10], v0, off offset:4056
	s_and_b64 exec, exec, s[0:1]
	s_cbranch_execz .LBB0_18
; %bb.17:
	v_mul_i32_i24_e32 v0, 3, v23
	v_lshlrev_b64 v[0:1], 2, v[0:1]
	v_mov_b32_e32 v7, s9
	v_add_co_u32_e32 v0, vcc, s8, v0
	v_addc_co_u32_e32 v1, vcc, v7, v1, vcc
	global_load_dwordx3 v[7:9], v[0:1], off offset:1344
	v_lshrrev_b32_e32 v10, 16, v4
	v_add_co_u32_e32 v0, vcc, 0x1000, v2
	v_addc_co_u32_e32 v1, vcc, 0, v3, vcc
	s_waitcnt vmcnt(0)
	v_mul_f16_sdwa v13, v12, v7 dst_sel:DWORD dst_unused:UNUSED_PAD src0_sel:DWORD src1_sel:WORD_1
	v_mul_f16_sdwa v14, v10, v7 dst_sel:DWORD dst_unused:UNUSED_PAD src0_sel:DWORD src1_sel:WORD_1
	;; [unrolled: 1-line block ×6, first 2 shown]
	v_fma_f16 v10, v10, v7, v13
	v_fma_f16 v7, v12, v7, -v14
	v_fma_f16 v5, v5, v8, v15
	v_fma_f16 v8, v31, v8, -v16
	;; [unrolled: 2-line block ×3, first 2 shown]
	v_sub_f16_e32 v5, v4, v5
	v_sub_f16_e32 v8, v11, v8
	;; [unrolled: 1-line block ×4, first 2 shown]
	v_fma_f16 v4, v4, 2.0, -v5
	v_fma_f16 v11, v11, 2.0, -v8
	;; [unrolled: 1-line block ×4, first 2 shown]
	v_add_f16_e32 v9, v5, v9
	v_sub_f16_e32 v6, v8, v6
	v_sub_f16_e32 v10, v4, v10
	;; [unrolled: 1-line block ×3, first 2 shown]
	v_fma_f16 v5, v5, 2.0, -v9
	v_fma_f16 v8, v8, 2.0, -v6
	v_pack_b32_f16 v6, v9, v6
	v_fma_f16 v4, v4, 2.0, -v10
	v_fma_f16 v9, v11, 2.0, -v7
	v_pack_b32_f16 v5, v5, v8
	v_pack_b32_f16 v7, v10, v7
	;; [unrolled: 1-line block ×3, first 2 shown]
	global_store_dword v[2:3], v5, off offset:2600
	global_store_dword v[2:3], v7, off offset:3952
	;; [unrolled: 1-line block ×4, first 2 shown]
.LBB0_18:
	s_endpgm
	.section	.rodata,"a",@progbits
	.p2align	6, 0x0
	.amdhsa_kernel fft_rtc_back_len1352_factors_2_13_13_4_wgs_52_tpt_52_halfLds_half_ip_CI_unitstride_sbrr_dirReg
		.amdhsa_group_segment_fixed_size 0
		.amdhsa_private_segment_fixed_size 0
		.amdhsa_kernarg_size 88
		.amdhsa_user_sgpr_count 6
		.amdhsa_user_sgpr_private_segment_buffer 1
		.amdhsa_user_sgpr_dispatch_ptr 0
		.amdhsa_user_sgpr_queue_ptr 0
		.amdhsa_user_sgpr_kernarg_segment_ptr 1
		.amdhsa_user_sgpr_dispatch_id 0
		.amdhsa_user_sgpr_flat_scratch_init 0
		.amdhsa_user_sgpr_private_segment_size 0
		.amdhsa_uses_dynamic_stack 0
		.amdhsa_system_sgpr_private_segment_wavefront_offset 0
		.amdhsa_system_sgpr_workgroup_id_x 1
		.amdhsa_system_sgpr_workgroup_id_y 0
		.amdhsa_system_sgpr_workgroup_id_z 0
		.amdhsa_system_sgpr_workgroup_info 0
		.amdhsa_system_vgpr_workitem_id 0
		.amdhsa_next_free_vgpr 97
		.amdhsa_next_free_sgpr 37
		.amdhsa_reserve_vcc 1
		.amdhsa_reserve_flat_scratch 0
		.amdhsa_float_round_mode_32 0
		.amdhsa_float_round_mode_16_64 0
		.amdhsa_float_denorm_mode_32 3
		.amdhsa_float_denorm_mode_16_64 3
		.amdhsa_dx10_clamp 1
		.amdhsa_ieee_mode 1
		.amdhsa_fp16_overflow 0
		.amdhsa_exception_fp_ieee_invalid_op 0
		.amdhsa_exception_fp_denorm_src 0
		.amdhsa_exception_fp_ieee_div_zero 0
		.amdhsa_exception_fp_ieee_overflow 0
		.amdhsa_exception_fp_ieee_underflow 0
		.amdhsa_exception_fp_ieee_inexact 0
		.amdhsa_exception_int_div_zero 0
	.end_amdhsa_kernel
	.text
.Lfunc_end0:
	.size	fft_rtc_back_len1352_factors_2_13_13_4_wgs_52_tpt_52_halfLds_half_ip_CI_unitstride_sbrr_dirReg, .Lfunc_end0-fft_rtc_back_len1352_factors_2_13_13_4_wgs_52_tpt_52_halfLds_half_ip_CI_unitstride_sbrr_dirReg
                                        ; -- End function
	.section	.AMDGPU.csdata,"",@progbits
; Kernel info:
; codeLenInByte = 18684
; NumSgprs: 41
; NumVgprs: 97
; ScratchSize: 0
; MemoryBound: 0
; FloatMode: 240
; IeeeMode: 1
; LDSByteSize: 0 bytes/workgroup (compile time only)
; SGPRBlocks: 5
; VGPRBlocks: 24
; NumSGPRsForWavesPerEU: 41
; NumVGPRsForWavesPerEU: 97
; Occupancy: 2
; WaveLimiterHint : 1
; COMPUTE_PGM_RSRC2:SCRATCH_EN: 0
; COMPUTE_PGM_RSRC2:USER_SGPR: 6
; COMPUTE_PGM_RSRC2:TRAP_HANDLER: 0
; COMPUTE_PGM_RSRC2:TGID_X_EN: 1
; COMPUTE_PGM_RSRC2:TGID_Y_EN: 0
; COMPUTE_PGM_RSRC2:TGID_Z_EN: 0
; COMPUTE_PGM_RSRC2:TIDIG_COMP_CNT: 0
	.type	__hip_cuid_e9d02925389e73a6,@object ; @__hip_cuid_e9d02925389e73a6
	.section	.bss,"aw",@nobits
	.globl	__hip_cuid_e9d02925389e73a6
__hip_cuid_e9d02925389e73a6:
	.byte	0                               ; 0x0
	.size	__hip_cuid_e9d02925389e73a6, 1

	.ident	"AMD clang version 19.0.0git (https://github.com/RadeonOpenCompute/llvm-project roc-6.4.0 25133 c7fe45cf4b819c5991fe208aaa96edf142730f1d)"
	.section	".note.GNU-stack","",@progbits
	.addrsig
	.addrsig_sym __hip_cuid_e9d02925389e73a6
	.amdgpu_metadata
---
amdhsa.kernels:
  - .args:
      - .actual_access:  read_only
        .address_space:  global
        .offset:         0
        .size:           8
        .value_kind:     global_buffer
      - .offset:         8
        .size:           8
        .value_kind:     by_value
      - .actual_access:  read_only
        .address_space:  global
        .offset:         16
        .size:           8
        .value_kind:     global_buffer
      - .actual_access:  read_only
        .address_space:  global
        .offset:         24
        .size:           8
        .value_kind:     global_buffer
      - .offset:         32
        .size:           8
        .value_kind:     by_value
      - .actual_access:  read_only
        .address_space:  global
        .offset:         40
        .size:           8
        .value_kind:     global_buffer
      - .actual_access:  read_only
        .address_space:  global
        .offset:         48
        .size:           8
        .value_kind:     global_buffer
      - .offset:         56
        .size:           4
        .value_kind:     by_value
      - .actual_access:  read_only
        .address_space:  global
        .offset:         64
        .size:           8
        .value_kind:     global_buffer
      - .actual_access:  read_only
        .address_space:  global
        .offset:         72
        .size:           8
        .value_kind:     global_buffer
      - .address_space:  global
        .offset:         80
        .size:           8
        .value_kind:     global_buffer
    .group_segment_fixed_size: 0
    .kernarg_segment_align: 8
    .kernarg_segment_size: 88
    .language:       OpenCL C
    .language_version:
      - 2
      - 0
    .max_flat_workgroup_size: 52
    .name:           fft_rtc_back_len1352_factors_2_13_13_4_wgs_52_tpt_52_halfLds_half_ip_CI_unitstride_sbrr_dirReg
    .private_segment_fixed_size: 0
    .sgpr_count:     41
    .sgpr_spill_count: 0
    .symbol:         fft_rtc_back_len1352_factors_2_13_13_4_wgs_52_tpt_52_halfLds_half_ip_CI_unitstride_sbrr_dirReg.kd
    .uniform_work_group_size: 1
    .uses_dynamic_stack: false
    .vgpr_count:     97
    .vgpr_spill_count: 0
    .wavefront_size: 64
amdhsa.target:   amdgcn-amd-amdhsa--gfx906
amdhsa.version:
  - 1
  - 2
...

	.end_amdgpu_metadata
